;; amdgpu-corpus repo=ROCm/rocm-libraries kind=compiled arch=gfx906 opt=O3
	.amdgcn_target "amdgcn-amd-amdhsa--gfx906"
	.amdhsa_code_object_version 6
	.text
	.protected	naive_conv_nonpacked_fwd_nchw_half_half_half ; -- Begin function naive_conv_nonpacked_fwd_nchw_half_half_half
	.globl	naive_conv_nonpacked_fwd_nchw_half_half_half
	.p2align	8
	.type	naive_conv_nonpacked_fwd_nchw_half_half_half,@function
naive_conv_nonpacked_fwd_nchw_half_half_half: ; @naive_conv_nonpacked_fwd_nchw_half_half_half
; %bb.0:
	s_load_dwordx16 s[8:23], s[4:5], 0x18
	s_abs_i32 s33, s6
	s_waitcnt lgkmcnt(0)
	s_abs_i32 s1, s11
	v_cvt_f32_u32_e32 v1, s1
	s_sub_i32 s2, 0, s1
	s_mul_i32 s0, s11, s10
	v_rcp_iflag_f32_e32 v1, v1
	v_mul_f32_e32 v1, 0x4f7ffffe, v1
	v_cvt_u32_f32_e32 v1, v1
	v_readfirstlane_b32 s3, v1
	s_mul_i32 s2, s2, s3
	s_mul_hi_u32 s2, s3, s2
	s_add_i32 s3, s3, s2
	s_mul_hi_u32 s2, s33, s3
	s_mul_i32 s3, s2, s1
	s_sub_i32 s3, s33, s3
	s_add_i32 s7, s2, 1
	s_sub_i32 s24, s3, s1
	s_cmp_ge_u32 s3, s1
	s_cselect_b32 s2, s7, s2
	s_cselect_b32 s3, s24, s3
	s_add_i32 s7, s2, 1
	s_cmp_ge_u32 s3, s1
	s_cselect_b32 s28, s7, s2
	s_abs_i32 s34, s10
	s_abs_i32 s10, s0
	v_cvt_f32_u32_e32 v1, s34
	v_cvt_f32_u32_e32 v2, s10
	s_mul_i32 s7, s14, s13
	v_cmp_gt_i32_e32 vcc, s7, v0
	v_rcp_iflag_f32_e32 v1, v1
	v_rcp_iflag_f32_e32 v2, v2
	v_mul_f32_e32 v1, 0x4f7ffffe, v1
	v_mul_f32_e32 v2, 0x4f7ffffe, v2
	v_cvt_u32_f32_e32 v1, v1
	v_cvt_u32_f32_e32 v2, v2
	v_readfirstlane_b32 s29, v1
	v_readfirstlane_b32 s1, v2
	s_and_saveexec_b64 s[2:3], vcc
	s_cbranch_execz .LBB0_51
; %bb.1:
	s_ashr_i32 s35, s6, 31
	s_ashr_i32 s30, s11, 31
	s_xor_b32 s30, s35, s30
	s_xor_b32 s28, s28, s30
	s_sub_i32 s36, s28, s30
	s_sub_i32 s28, 0, s34
	s_mul_i32 s28, s28, s29
	s_mul_hi_u32 s28, s29, s28
	s_abs_i32 s38, s36
	s_add_i32 s29, s29, s28
	s_mul_hi_u32 s39, s38, s29
	s_load_dwordx2 s[28:29], s[4:5], 0x58
	s_ashr_i32 s40, s0, 31
	s_sub_i32 s0, 0, s10
	s_mul_i32 s0, s0, s1
	s_mul_hi_u32 s0, s1, s0
	s_ashr_i32 s37, s36, 31
	s_add_i32 s1, s1, s0
	s_waitcnt lgkmcnt(0)
	s_bitcmp1_b32 s28, 0
	s_mul_i32 s39, s39, s34
	s_mul_hi_u32 s41, s33, s1
	s_cselect_b64 s[0:1], -1, 0
	s_mul_i32 s36, s36, s11
	s_sub_i32 s28, s38, s39
	s_xor_b64 s[30:31], s[0:1], -1
	s_sub_i32 s36, s6, s36
	s_sub_i32 s38, s28, s34
	s_cmp_ge_u32 s28, s34
	s_cselect_b32 s28, s38, s28
	s_sub_i32 s38, s28, s34
	s_cmp_ge_u32 s28, s34
	s_cselect_b32 s28, s38, s28
	s_mul_i32 s34, s41, s10
	s_xor_b32 s28, s28, s37
	s_sub_i32 s33, s33, s34
	s_sub_i32 s37, s28, s37
	s_xor_b32 s28, s35, s40
	s_add_i32 s34, s41, 1
	s_sub_i32 s35, s33, s10
	s_cmp_ge_u32 s33, s10
	s_cselect_b32 s34, s34, s41
	s_cselect_b32 s33, s35, s33
	s_add_i32 s35, s34, 1
	s_cmp_ge_u32 s33, s10
	s_cselect_b32 s10, s35, s34
	s_xor_b32 s10, s10, s28
	s_mul_i32 s42, s23, s11
	s_mul_i32 s23, s23, s12
	s_sub_i32 s10, s10, s28
	s_mul_hi_i32 s34, s37, s23
	s_mul_i32 s23, s37, s23
	s_ashr_i32 s28, s8, 31
	s_ashr_i32 s33, s9, 31
	;; [unrolled: 1-line block ×3, first 2 shown]
	s_mul_i32 s38, s10, s12
	s_mul_hi_i32 s35, s10, s12
	s_add_u32 s40, s38, s23
	s_addc_u32 s41, s35, s34
	s_mul_i32 s34, s9, s8
	s_load_dwordx4 s[24:27], s[4:5], 0x0
	s_load_dwordx2 s[2:3], s[4:5], 0x10
	s_mul_hi_i32 s23, s9, s8
	s_mul_i32 s35, s34, s41
	s_mul_hi_u32 s38, s34, s40
	s_add_i32 s35, s38, s35
	s_mul_i32 s23, s23, s40
	s_add_i32 s35, s35, s23
	s_mul_i32 s34, s34, s40
	s_lshl_b64 s[34:35], s[34:35], 1
	s_waitcnt lgkmcnt(0)
	s_add_u32 s64, s24, s34
	s_addc_u32 s65, s25, s35
	s_mul_hi_i32 s34, s10, s11
	s_mul_i32 s10, s10, s11
	s_ashr_i32 s23, s22, 31
	s_ashr_i32 s11, s36, 31
	s_add_u32 s44, s10, s36
	s_addc_u32 s45, s34, s11
	s_mul_hi_i32 s10, s37, s42
	s_mul_i32 s37, s37, s42
	s_ashr_i32 s66, s14, 31
	s_add_u32 s34, s44, s37
	s_addc_u32 s10, s45, s10
	s_mul_hi_i32 s11, s14, s13
	s_mul_i32 s10, s7, s10
	s_mul_hi_u32 s13, s7, s34
	s_add_i32 s10, s13, s10
	s_mul_i32 s11, s11, s34
	s_add_i32 s11, s10, s11
	s_mul_i32 s10, s7, s34
	s_lshl_b64 s[10:11], s[10:11], 1
	s_add_u32 s13, s2, s10
	s_addc_u32 s67, s3, s11
	s_cmp_gt_i32 s12, 0
	s_cselect_b64 s[10:11], -1, 0
	s_cmp_gt_i32 s21, 0
	s_cselect_b64 s[34:35], -1, 0
	;; [unrolled: 2-line block ×3, first 2 shown]
	s_add_u32 s38, s4, 0x60
	s_addc_u32 s39, s5, 0
	s_abs_i32 s68, s14
	v_cvt_f32_u32_e32 v1, s68
	s_sub_i32 s2, 0, s68
	s_mul_hi_u32 s3, s40, s9
	s_mul_i32 s41, s41, s9
	v_rcp_iflag_f32_e32 v1, v1
	s_mul_i32 s4, s40, s9
	s_mul_hi_u32 s5, s4, s8
	s_mov_b32 s69, s8
	v_mul_f32_e32 v1, 0x4f7ffffe, v1
	v_cvt_u32_f32_e32 v1, v1
	s_mov_b32 s70, s9
	s_mov_b32 s71, s21
	s_movk_i32 s72, 0x7c00
	v_mul_lo_u32 v2, s2, v1
	s_mul_i32 s2, s40, s33
	s_add_i32 s2, s3, s2
	s_add_i32 s2, s2, s41
	s_mul_i32 s3, s4, s28
	s_add_i32 s3, s5, s3
	s_mul_i32 s2, s2, s8
	;; [unrolled: 2-line block ×3, first 2 shown]
	s_lshl_b64 s[2:3], s[2:3], 1
	s_add_u32 s8, s24, s2
	s_mul_i32 s2, s22, s21
	s_addc_u32 s9, s25, s3
	s_mul_hi_i32 s3, s22, s21
	s_mul_i32 s4, s2, s45
	s_mul_hi_u32 s5, s2, s44
	s_lshl_b64 s[24:25], s[2:3], 1
	s_add_i32 s4, s5, s4
	s_mul_i32 s3, s3, s44
	s_mul_i32 s2, s2, s44
	s_add_i32 s3, s4, s3
	s_mul_i32 s4, s2, s43
	s_mul_hi_u32 s5, s2, s12
	v_mul_hi_u32 v2, v1, v2
	s_add_i32 s4, s5, s4
	s_mul_i32 s3, s3, s12
	s_add_i32 s3, s4, s3
	s_mul_i32 s2, s2, s12
	s_lshl_b64 s[40:41], s[22:23], 1
	s_lshl_b64 s[2:3], s[2:3], 1
	s_add_u32 s26, s26, s2
	v_add_u32_e32 v12, v1, v2
	v_mov_b32_e32 v2, 0
	s_addc_u32 s27, s27, s3
	s_mov_b64 s[42:43], 0
	s_mov_b32 s21, 0x7000149
	s_mov_b32 s23, 0x3819f
	s_movk_i32 s73, 0x80
	s_movk_i32 s74, 0x7f
	;; [unrolled: 1-line block ×6, first 2 shown]
	s_mov_b32 s79, 0x8000
	v_bfrev_b32_e32 v3, 4
	v_mov_b32_e32 v4, 0x7ff80000
	v_mov_b32_e32 v13, 0x3b800000
	;; [unrolled: 1-line block ×5, first 2 shown]
	s_branch .LBB0_4
.LBB0_2:                                ;   in Loop: Header=BB0_4 Depth=1
	v_and_or_b32 v1, v7, s76, v6
	v_cmp_ne_u32_e32 vcc, 0, v1
	v_cndmask_b32_e64 v1, 0, 1, vcc
	v_lshrrev_b32_e32 v6, 8, v7
	v_bfe_u32 v8, v7, 20, 11
	v_and_or_b32 v1, v6, s77, v1
	v_sub_u32_e32 v9, 0x3f1, v8
	v_or_b32_e32 v6, 0x1000, v1
	v_med3_i32 v9, v9, 0, 13
	v_lshrrev_b32_e32 v10, v9, v6
	v_lshlrev_b32_e32 v9, v9, v10
	v_cmp_ne_u32_e32 vcc, v9, v6
	v_cndmask_b32_e64 v6, 0, 1, vcc
	v_add_u32_e32 v8, 0xfffffc10, v8
	v_or_b32_e32 v6, v10, v6
	v_lshl_or_b32 v9, v8, 12, v1
	v_cmp_gt_i32_e32 vcc, 1, v8
	v_cndmask_b32_e32 v6, v9, v6, vcc
	v_and_b32_e32 v9, 7, v6
	v_cmp_lt_i32_e32 vcc, 5, v9
	v_cndmask_b32_e64 v10, 0, 1, vcc
	v_cmp_eq_u32_e32 vcc, 3, v9
	v_cndmask_b32_e64 v9, 0, 1, vcc
	v_or_b32_e32 v9, v9, v10
	v_lshrrev_b32_e32 v6, 2, v6
	v_add_u32_e32 v6, v6, v9
	v_cmp_gt_i32_e32 vcc, 31, v8
	v_cndmask_b32_e32 v6, v14, v6, vcc
	v_cmp_ne_u32_e32 vcc, 0, v1
	v_cndmask_b32_e32 v1, v14, v15, vcc
	v_cmp_eq_u32_e32 vcc, s78, v8
	v_cndmask_b32_e32 v1, v6, v1, vcc
	v_lshrrev_b32_e32 v6, 16, v7
	v_and_or_b32 v1, v6, s79, v1
.LBB0_3:                                ;   in Loop: Header=BB0_4 Depth=1
	v_mad_i64_i32 v[7:8], s[2:3], v17, s14, 0
	v_mov_b32_e32 v6, v2
	v_mov_b32_e32 v9, s67
	v_lshlrev_b64 v[7:8], 1, v[7:8]
	v_lshlrev_b64 v[5:6], 1, v[5:6]
	v_add_co_u32_e32 v7, vcc, s13, v7
	v_addc_co_u32_e32 v8, vcc, v9, v8, vcc
	v_add_co_u32_e32 v5, vcc, v7, v5
	v_addc_co_u32_e32 v6, vcc, v8, v6, vcc
	v_add_u32_e32 v16, 0x100, v16
	v_cmp_le_i32_e32 vcc, s7, v16
	s_or_b64 s[42:43], vcc, s[42:43]
	global_store_short v[5:6], v1, off
	s_andn2_b64 exec, exec, s[42:43]
	s_cbranch_execz .LBB0_51
.LBB0_4:                                ; =>This Loop Header: Depth=1
                                        ;     Child Loop BB0_7 Depth 2
                                        ;       Child Loop BB0_10 Depth 3
                                        ;         Child Loop BB0_14 Depth 4
	v_mul_hi_u32 v1, v16, v12
	v_mul_lo_u32 v5, v1, s68
	v_add_u32_e32 v6, 1, v1
	v_sub_u32_e32 v5, v16, v5
	v_cmp_le_u32_e32 vcc, s68, v5
	v_cndmask_b32_e32 v1, v1, v6, vcc
	v_subrev_u32_e32 v6, s68, v5
	v_cndmask_b32_e32 v5, v5, v6, vcc
	v_add_u32_e32 v6, 1, v1
	v_cmp_le_u32_e32 vcc, s68, v5
	v_cndmask_b32_e32 v1, v1, v6, vcc
	v_xor_b32_e32 v1, s66, v1
	v_subrev_u32_e32 v17, s66, v1
	v_mul_lo_u32 v1, v17, s14
	s_andn2_b64 vcc, exec, s[10:11]
	v_sub_u32_e32 v5, v16, v1
	v_mov_b32_e32 v1, v2
	s_cbranch_vccnz .LBB0_3
; %bb.5:                                ;   in Loop: Header=BB0_4 Depth=1
	v_mul_lo_u32 v6, v5, s16
	v_mul_lo_u32 v1, v17, s15
	s_mov_b32 s80, 0
	s_mov_b64 s[44:45], s[26:27]
	v_subrev_u32_e32 v19, s20, v6
	v_mov_b32_e32 v6, 0
	v_subrev_u32_e32 v18, s19, v1
	v_mov_b32_e32 v7, 0
	s_mov_b64 s[46:47], s[8:9]
	s_branch .LBB0_7
.LBB0_6:                                ;   in Loop: Header=BB0_7 Depth=2
	s_add_i32 s80, s80, 1
	s_add_u32 s46, s46, s24
	s_addc_u32 s47, s47, s25
	s_add_u32 s44, s44, s24
	s_addc_u32 s45, s45, s25
	s_cmp_eq_u32 s80, s12
	s_cbranch_scc1 .LBB0_2
.LBB0_7:                                ;   Parent Loop BB0_4 Depth=1
                                        ; =>  This Loop Header: Depth=2
                                        ;       Child Loop BB0_10 Depth 3
                                        ;         Child Loop BB0_14 Depth 4
	s_andn2_b64 vcc, exec, s[34:35]
	s_cbranch_vccnz .LBB0_6
; %bb.8:                                ;   in Loop: Header=BB0_7 Depth=2
	s_mul_i32 s2, s80, s28
	s_mul_hi_u32 s3, s80, s69
	s_add_i32 s81, s3, s2
	s_mul_i32 s82, s80, s69
	s_mov_b32 s83, 0
	s_mov_b64 s[48:49], s[44:45]
	s_mov_b64 s[50:51], s[46:47]
	s_branch .LBB0_10
.LBB0_9:                                ;   in Loop: Header=BB0_10 Depth=3
	s_add_i32 s83, s83, 1
	s_add_u32 s50, s50, s40
	s_addc_u32 s51, s51, s41
	s_add_u32 s48, s48, s40
	s_addc_u32 s49, s49, s41
	s_cmp_eq_u32 s83, s71
	s_cbranch_scc1 .LBB0_6
.LBB0_10:                               ;   Parent Loop BB0_4 Depth=1
                                        ;     Parent Loop BB0_7 Depth=2
                                        ; =>    This Loop Header: Depth=3
                                        ;         Child Loop BB0_14 Depth 4
	s_andn2_b64 vcc, exec, s[36:37]
	s_cbranch_vccnz .LBB0_9
; %bb.11:                               ;   in Loop: Header=BB0_10 Depth=3
	s_mul_i32 s2, s83, s17
	v_add_u32_e32 v1, s2, v18
	v_cmp_gt_i32_e32 vcc, 0, v1
	v_cmp_le_i32_e64 s[2:3], s69, v1
	s_or_b64 s[52:53], vcc, s[2:3]
	v_add_co_u32_e32 v1, vcc, s82, v1
	v_mov_b32_e32 v8, s81
	v_addc_co_u32_e32 v8, vcc, 0, v8, vcc
	v_mul_lo_u32 v10, v8, s70
	v_mul_lo_u32 v11, v1, s33
	v_mad_u64_u32 v[8:9], s[2:3], v1, s70, 0
	v_mov_b32_e32 v1, s65
	s_mov_b64 s[54:55], s[48:49]
	v_add3_u32 v9, v9, v11, v10
	v_lshlrev_b64 v[8:9], 1, v[8:9]
	s_mov_b64 s[56:57], s[50:51]
	v_add_co_u32_e32 v20, vcc, s64, v8
	v_addc_co_u32_e32 v21, vcc, v1, v9, vcc
	v_mov_b32_e32 v1, v19
	s_mov_b32 s84, s22
	s_branch .LBB0_14
.LBB0_12:                               ;   in Loop: Header=BB0_14 Depth=4
	s_or_b64 exec, exec, s[4:5]
	v_fma_f64 v[6:7], v[8:9], v[10:11], v[6:7]
.LBB0_13:                               ;   in Loop: Header=BB0_14 Depth=4
	s_or_b64 exec, exec, s[58:59]
	s_add_i32 s84, s84, -1
	s_add_u32 s56, s56, 2
	s_addc_u32 s57, s57, 0
	s_add_u32 s54, s54, 2
	s_addc_u32 s55, s55, 0
	s_cmp_eq_u32 s84, 0
	v_add_u32_e32 v1, s18, v1
	s_cbranch_scc1 .LBB0_9
.LBB0_14:                               ;   Parent Loop BB0_4 Depth=1
                                        ;     Parent Loop BB0_7 Depth=2
                                        ;       Parent Loop BB0_10 Depth=3
                                        ; =>      This Inner Loop Header: Depth=4
	v_cmp_gt_i32_e32 vcc, 0, v1
	v_cmp_le_i32_e64 s[2:3], s70, v1
	s_or_b64 s[2:3], vcc, s[2:3]
	s_nor_b64 s[2:3], s[52:53], s[2:3]
	s_and_saveexec_b64 s[58:59], s[2:3]
	s_cbranch_execz .LBB0_13
; %bb.15:                               ;   in Loop: Header=BB0_14 Depth=4
	v_lshlrev_b64 v[8:9], 1, v[1:2]
	s_mov_b64 s[2:3], -1
	v_add_co_u32_e32 v8, vcc, v20, v8
	v_addc_co_u32_e32 v9, vcc, v21, v9, vcc
	global_load_ushort v9, v[8:9], off
	s_andn2_b64 vcc, exec, s[30:31]
	s_cbranch_vccnz .LBB0_17
; %bb.16:                               ;   in Loop: Header=BB0_14 Depth=4
	s_mov_b64 s[2:3], 0
.LBB0_17:                               ;   in Loop: Header=BB0_14 Depth=4
	v_mov_b32_e32 v11, 0
	s_andn2_b64 vcc, exec, s[2:3]
	v_mov_b32_e32 v8, 0
	s_cbranch_vccnz .LBB0_19
; %bb.18:                               ;   in Loop: Header=BB0_14 Depth=4
	global_load_ushort v8, v2, s[56:57]
	s_load_dword s2, s[38:39], 0xc
	s_waitcnt vmcnt(1)
	v_lshrrev_b32_e32 v11, 5, v9
	v_mul_lo_u32 v11, v11, s21
	s_waitcnt lgkmcnt(0)
	s_and_b32 s2, s2, 0xffff
	s_mul_i32 s2, s6, s2
	v_add_u32_e32 v10, s2, v0
	v_mul_lo_u32 v10, v10, s23
	v_xor_b32_e32 v11, s29, v11
	v_xor_b32_e32 v11, v11, v10
	;; [unrolled: 1-line block ×3, first 2 shown]
	s_waitcnt vmcnt(0)
	v_readfirstlane_b32 s2, v8
	s_lshr_b32 s2, s2, 5
	s_mul_i32 s2, s2, 0x7000149
	s_xor_b32 s2, s29, s2
	s_xor_b32 s2, s2, 0x13371337
	v_xor_b32_e32 v8, s2, v10
.LBB0_19:                               ;   in Loop: Header=BB0_14 Depth=4
	s_waitcnt vmcnt(0)
	v_and_b32_e32 v10, 0x7c00, v9
	v_cmp_ne_u32_e32 vcc, s72, v10
	v_mov_b32_e32 v22, 0x80
	v_mov_b32_e32 v10, 0x80
	s_and_saveexec_b64 s[60:61], vcc
	s_cbranch_execz .LBB0_27
; %bb.20:                               ;   in Loop: Header=BB0_14 Depth=4
	v_mov_b32_e32 v10, 0
	v_cmp_ne_u16_e32 vcc, 0, v9
	s_and_saveexec_b64 s[62:63], vcc
	s_cbranch_execz .LBB0_26
; %bb.21:                               ;   in Loop: Header=BB0_14 Depth=4
	v_bfe_u32 v23, v9, 10, 5
	v_sub_u32_e32 v24, 8, v23
	v_cmp_gt_u32_e32 vcc, 9, v23
	v_and_b32_e32 v10, 0x3ff, v9
	v_cndmask_b32_e32 v24, 0, v24, vcc
	v_cmp_eq_u32_e32 vcc, 0, v23
	v_or_b32_e32 v25, 0x400, v10
	v_cndmask_b32_e64 v24, v24, 7, vcc
	v_cndmask_b32_e32 v10, v25, v10, vcc
	v_lshl_add_u32 v25, s73, v24, -1
	v_cmp_lt_u32_e64 s[2:3], 3, v24
	v_and_b32_e32 v25, v25, v10
	v_lshlrev_b32_e64 v26, v24, 64
	v_lshrrev_b32_e32 v10, v24, v10
	v_cmp_ne_u32_e64 s[4:5], v25, v26
	v_add_u32_e32 v23, -7, v23
	s_or_b64 s[2:3], s[0:1], s[2:3]
	v_bfe_u32 v25, v10, 7, 1
	v_cndmask_b32_e64 v23, v23, -6, vcc
	v_cndmask_b32_e64 v11, v10, v11, s[0:1]
	v_add3_u32 v25, v10, v25, -1
	s_or_b64 vcc, s[2:3], s[4:5]
	v_add_u32_e32 v23, v24, v23
	v_lshrrev_b32_e32 v24, 10, v10
	v_cndmask_b32_e32 v11, v25, v11, vcc
	v_xor_b32_e32 v24, 1, v24
	v_and_b32_e32 v11, 0x7f, v11
	v_add_u32_e32 v10, v11, v10
	v_cmp_ne_u32_e32 vcc, v23, v24
                                        ; implicit-def: $vgpr11
	s_and_saveexec_b64 s[2:3], vcc
	s_xor_b64 s[2:3], exec, s[2:3]
; %bb.22:                               ;   in Loop: Header=BB0_14 Depth=4
	v_cmp_lt_u32_e32 vcc, s75, v10
	v_sub_u32_e32 v11, v23, v24
	v_cndmask_b32_e64 v23, 0, 1, vcc
	v_addc_co_u32_e32 v11, vcc, 0, v11, vcc
	v_lshrrev_b32_e32 v10, v23, v10
; %bb.23:                               ;   in Loop: Header=BB0_14 Depth=4
	s_andn2_saveexec_b64 s[2:3], s[2:3]
; %bb.24:                               ;   in Loop: Header=BB0_14 Depth=4
	v_bfe_u32 v11, v10, 10, 1
; %bb.25:                               ;   in Loop: Header=BB0_14 Depth=4
	s_or_b64 exec, exec, s[2:3]
	v_lshrrev_b32_e32 v10, 7, v10
	v_cmp_gt_i32_e32 vcc, 16, v11
	v_lshrrev_b32_e32 v9, 8, v9
	v_min_i32_e32 v23, 15, v11
	v_cndmask_b32_e32 v10, 7, v10, vcc
	v_and_b32_e32 v9, 0x80, v9
	v_or_b32_e32 v11, v11, v10
	v_and_b32_e32 v10, 7, v10
	v_lshlrev_b32_e32 v23, 3, v23
	v_or3_b32 v9, v23, v9, v10
	v_cmp_ne_u32_e32 vcc, 0, v11
	v_cndmask_b32_e32 v10, 0, v9, vcc
.LBB0_26:                               ;   in Loop: Header=BB0_14 Depth=4
	s_or_b64 exec, exec, s[62:63]
.LBB0_27:                               ;   in Loop: Header=BB0_14 Depth=4
	s_or_b64 exec, exec, s[60:61]
	global_load_ushort v9, v2, s[54:55]
	s_waitcnt vmcnt(0)
	v_readfirstlane_b32 s2, v9
	s_and_b32 s4, 0xffff, s2
	s_and_b32 s2, s4, 0x7c00
	s_cmpk_eq_i32 s2, 0x7c00
	s_cbranch_scc1 .LBB0_35
; %bb.28:                               ;   in Loop: Header=BB0_14 Depth=4
	v_cmp_eq_u32_sdwa s[2:3], v9, v2 src0_sel:WORD_0 src1_sel:DWORD
	s_and_b64 vcc, exec, s[2:3]
	s_cbranch_vccnz .LBB0_34
; %bb.29:                               ;   in Loop: Header=BB0_14 Depth=4
	s_bfe_u32 s3, s4, 0x5000a
	s_and_b32 s2, s4, 0x3ff
	s_sub_i32 s5, 8, s3
	s_cmp_lt_u32 s3, 9
	s_cselect_b32 s5, s5, 0
	s_or_b32 s60, s2, 0x400
	s_add_i32 s61, s3, -7
	s_cmp_eq_u32 s3, 0
	s_cselect_b32 s5, 7, s5
	s_cselect_b32 s60, s2, s60
	s_cselect_b32 s61, -6, s61
	s_cmp_gt_u32 s5, 3
	s_cselect_b64 s[2:3], -1, 0
	s_lshl_b32 s62, 0x80, s5
	s_add_i32 s62, s62, -1
	s_and_b32 s62, s62, s60
	s_lshl_b32 s63, 64, s5
	s_cmp_lg_u32 s62, s63
	s_cselect_b64 s[62:63], -1, 0
	s_lshr_b32 s85, s60, s5
	s_add_i32 s5, s5, s61
	s_bfe_u32 s61, s85, 0x10007
	s_add_i32 s61, s85, s61
	s_or_b64 s[2:3], s[0:1], s[2:3]
	v_mov_b32_e32 v9, s85
	s_add_i32 s61, s61, -1
	v_cndmask_b32_e64 v8, v9, v8, s[0:1]
	v_mov_b32_e32 v9, s61
	s_or_b64 vcc, s[2:3], s[62:63]
	s_lshr_b32 s60, s85, 10
	v_cndmask_b32_e32 v8, v9, v8, vcc
	s_xor_b32 s60, s60, 1
	v_and_b32_e32 v8, 0x7f, v8
	v_add_u32_e32 v8, s85, v8
	s_cmp_lg_u32 s5, s60
	s_mov_b64 s[2:3], -1
                                        ; implicit-def: $vgpr11
                                        ; implicit-def: $vgpr9
	s_cbranch_scc0 .LBB0_31
; %bb.30:                               ;   in Loop: Header=BB0_14 Depth=4
	s_sub_i32 s2, s5, s60
	v_cmp_lt_u32_e32 vcc, s75, v8
	v_cndmask_b32_e64 v11, 0, 1, vcc
	v_mov_b32_e32 v9, s2
	v_addc_co_u32_e32 v9, vcc, 0, v9, vcc
	v_lshrrev_b32_e32 v11, v11, v8
	s_mov_b64 s[2:3], 0
.LBB0_31:                               ;   in Loop: Header=BB0_14 Depth=4
	s_andn2_b64 vcc, exec, s[2:3]
	s_cbranch_vccnz .LBB0_33
; %bb.32:                               ;   in Loop: Header=BB0_14 Depth=4
	v_bfe_u32 v9, v8, 10, 1
	v_mov_b32_e32 v11, v8
.LBB0_33:                               ;   in Loop: Header=BB0_14 Depth=4
	v_lshrrev_b32_e32 v8, 7, v11
	v_cmp_gt_i32_e32 vcc, 16, v9
	s_lshr_b32 s2, s4, 8
	v_min_i32_e32 v11, 15, v9
	v_cndmask_b32_e32 v8, 7, v8, vcc
	s_and_b32 s2, s2, 0x80
	v_or_b32_e32 v9, v9, v8
	v_and_b32_e32 v8, 7, v8
	v_lshlrev_b32_e32 v11, 3, v11
	v_or3_b32 v8, v11, s2, v8
	v_cmp_ne_u32_e32 vcc, 0, v9
	v_cndmask_b32_e32 v22, 0, v8, vcc
	s_branch .LBB0_35
.LBB0_34:                               ;   in Loop: Header=BB0_14 Depth=4
	v_mov_b32_e32 v22, 0
.LBB0_35:                               ;   in Loop: Header=BB0_14 Depth=4
	v_cmp_gt_i16_sdwa s[4:5], v10, s74 src0_sel:BYTE_0 src1_sel:DWORD
	s_mov_b64 s[2:3], 0
	s_and_saveexec_b64 s[60:61], s[4:5]
	s_xor_b64 s[4:5], exec, s[60:61]
	s_cbranch_execz .LBB0_39
; %bb.36:                               ;   in Loop: Header=BB0_14 Depth=4
	v_cmp_eq_u16_sdwa s[62:63], v10, s73 src0_sel:BYTE_0 src1_sel:DWORD
	s_mov_b64 s[2:3], -1
	s_and_saveexec_b64 s[60:61], s[62:63]
; %bb.37:                               ;   in Loop: Header=BB0_14 Depth=4
	s_xor_b64 s[2:3], exec, -1
; %bb.38:                               ;   in Loop: Header=BB0_14 Depth=4
	s_or_b64 exec, exec, s[60:61]
	s_and_b64 s[2:3], s[2:3], exec
.LBB0_39:                               ;   in Loop: Header=BB0_14 Depth=4
	s_or_saveexec_b64 s[4:5], s[4:5]
	v_mov_b32_e32 v9, v4
	v_mov_b32_e32 v8, v3
	s_xor_b64 exec, exec, s[4:5]
; %bb.40:                               ;   in Loop: Header=BB0_14 Depth=4
	v_cmp_ne_u16_sdwa s[60:61], v10, v2 src0_sel:BYTE_0 src1_sel:DWORD
	v_mov_b32_e32 v8, 0
	s_andn2_b64 s[2:3], s[2:3], exec
	s_and_b64 s[60:61], s[60:61], exec
	v_mov_b32_e32 v9, 0
	s_or_b64 s[2:3], s[2:3], s[60:61]
; %bb.41:                               ;   in Loop: Header=BB0_14 Depth=4
	s_or_b64 exec, exec, s[4:5]
	s_and_saveexec_b64 s[4:5], s[2:3]
	s_cbranch_execz .LBB0_43
; %bb.42:                               ;   in Loop: Header=BB0_14 Depth=4
	v_and_b32_e32 v9, 7, v10
	v_ffbh_u32_e32 v11, v9
	v_lshrrev_b16_e32 v8, 3, v10
	v_subrev_u32_e32 v23, 28, v11
	v_and_b32_e32 v8, 15, v8
	v_lshlrev_b32_e32 v23, v23, v10
	v_sub_u32_e32 v11, 29, v11
	v_and_b32_e32 v23, 7, v23
	v_cmp_eq_u32_e32 vcc, 0, v8
	v_cndmask_b32_e32 v9, v9, v23, vcc
	v_cndmask_b32_e32 v8, v8, v11, vcc
	v_lshlrev_b32_e32 v10, 24, v10
	v_lshlrev_b32_e32 v9, 20, v9
	v_and_b32_e32 v10, 0x80000000, v10
	v_lshl_add_u32 v8, v8, 23, v13
	v_or3_b32 v8, v10, v8, v9
	v_cvt_f64_f32_e32 v[8:9], v8
.LBB0_43:                               ;   in Loop: Header=BB0_14 Depth=4
	s_or_b64 exec, exec, s[4:5]
	v_cmp_gt_i16_sdwa s[4:5], v22, s74 src0_sel:BYTE_0 src1_sel:DWORD
	s_mov_b64 s[2:3], 0
	s_and_saveexec_b64 s[60:61], s[4:5]
	s_xor_b64 s[4:5], exec, s[60:61]
	s_cbranch_execz .LBB0_47
; %bb.44:                               ;   in Loop: Header=BB0_14 Depth=4
	v_cmp_eq_u16_sdwa s[62:63], v22, s73 src0_sel:BYTE_0 src1_sel:DWORD
	s_mov_b64 s[2:3], -1
	s_and_saveexec_b64 s[60:61], s[62:63]
; %bb.45:                               ;   in Loop: Header=BB0_14 Depth=4
	s_xor_b64 s[2:3], exec, -1
; %bb.46:                               ;   in Loop: Header=BB0_14 Depth=4
	s_or_b64 exec, exec, s[60:61]
	s_and_b64 s[2:3], s[2:3], exec
.LBB0_47:                               ;   in Loop: Header=BB0_14 Depth=4
	s_or_saveexec_b64 s[4:5], s[4:5]
	v_mov_b32_e32 v11, v4
	v_mov_b32_e32 v10, v3
	s_xor_b64 exec, exec, s[4:5]
; %bb.48:                               ;   in Loop: Header=BB0_14 Depth=4
	v_cmp_ne_u16_sdwa s[60:61], v22, v2 src0_sel:BYTE_0 src1_sel:DWORD
	v_mov_b32_e32 v10, 0
	s_andn2_b64 s[2:3], s[2:3], exec
	s_and_b64 s[60:61], s[60:61], exec
	v_mov_b32_e32 v11, 0
	s_or_b64 s[2:3], s[2:3], s[60:61]
; %bb.49:                               ;   in Loop: Header=BB0_14 Depth=4
	s_or_b64 exec, exec, s[4:5]
	s_and_saveexec_b64 s[4:5], s[2:3]
	s_cbranch_execz .LBB0_12
; %bb.50:                               ;   in Loop: Header=BB0_14 Depth=4
	v_and_b32_e32 v11, 7, v22
	v_ffbh_u32_e32 v23, v11
	v_lshrrev_b16_e32 v10, 3, v22
	v_subrev_u32_e32 v24, 28, v23
	v_and_b32_e32 v10, 15, v10
	v_lshlrev_b32_e32 v24, v24, v22
	v_sub_u32_e32 v23, 29, v23
	v_and_b32_e32 v24, 7, v24
	v_cmp_eq_u32_e32 vcc, 0, v10
	v_cndmask_b32_e32 v11, v11, v24, vcc
	v_cndmask_b32_e32 v10, v10, v23, vcc
	v_lshlrev_b32_e32 v22, 24, v22
	v_lshlrev_b32_e32 v11, 20, v11
	v_and_b32_e32 v22, 0x80000000, v22
	v_lshl_add_u32 v10, v10, 23, v13
	v_or3_b32 v10, v22, v10, v11
	v_cvt_f64_f32_e32 v[10:11], v10
	s_branch .LBB0_12
.LBB0_51:
	s_endpgm
	.section	.rodata,"a",@progbits
	.p2align	6, 0x0
	.amdhsa_kernel naive_conv_nonpacked_fwd_nchw_half_half_half
		.amdhsa_group_segment_fixed_size 0
		.amdhsa_private_segment_fixed_size 0
		.amdhsa_kernarg_size 352
		.amdhsa_user_sgpr_count 6
		.amdhsa_user_sgpr_private_segment_buffer 1
		.amdhsa_user_sgpr_dispatch_ptr 0
		.amdhsa_user_sgpr_queue_ptr 0
		.amdhsa_user_sgpr_kernarg_segment_ptr 1
		.amdhsa_user_sgpr_dispatch_id 0
		.amdhsa_user_sgpr_flat_scratch_init 0
		.amdhsa_user_sgpr_private_segment_size 0
		.amdhsa_uses_dynamic_stack 0
		.amdhsa_system_sgpr_private_segment_wavefront_offset 0
		.amdhsa_system_sgpr_workgroup_id_x 1
		.amdhsa_system_sgpr_workgroup_id_y 0
		.amdhsa_system_sgpr_workgroup_id_z 0
		.amdhsa_system_sgpr_workgroup_info 0
		.amdhsa_system_vgpr_workitem_id 0
		.amdhsa_next_free_vgpr 27
		.amdhsa_next_free_sgpr 86
		.amdhsa_reserve_vcc 1
		.amdhsa_reserve_flat_scratch 0
		.amdhsa_float_round_mode_32 0
		.amdhsa_float_round_mode_16_64 0
		.amdhsa_float_denorm_mode_32 3
		.amdhsa_float_denorm_mode_16_64 3
		.amdhsa_dx10_clamp 1
		.amdhsa_ieee_mode 1
		.amdhsa_fp16_overflow 0
		.amdhsa_exception_fp_ieee_invalid_op 0
		.amdhsa_exception_fp_denorm_src 0
		.amdhsa_exception_fp_ieee_div_zero 0
		.amdhsa_exception_fp_ieee_overflow 0
		.amdhsa_exception_fp_ieee_underflow 0
		.amdhsa_exception_fp_ieee_inexact 0
		.amdhsa_exception_int_div_zero 0
	.end_amdhsa_kernel
	.text
.Lfunc_end0:
	.size	naive_conv_nonpacked_fwd_nchw_half_half_half, .Lfunc_end0-naive_conv_nonpacked_fwd_nchw_half_half_half
                                        ; -- End function
	.set naive_conv_nonpacked_fwd_nchw_half_half_half.num_vgpr, 27
	.set naive_conv_nonpacked_fwd_nchw_half_half_half.num_agpr, 0
	.set naive_conv_nonpacked_fwd_nchw_half_half_half.numbered_sgpr, 86
	.set naive_conv_nonpacked_fwd_nchw_half_half_half.num_named_barrier, 0
	.set naive_conv_nonpacked_fwd_nchw_half_half_half.private_seg_size, 0
	.set naive_conv_nonpacked_fwd_nchw_half_half_half.uses_vcc, 1
	.set naive_conv_nonpacked_fwd_nchw_half_half_half.uses_flat_scratch, 0
	.set naive_conv_nonpacked_fwd_nchw_half_half_half.has_dyn_sized_stack, 0
	.set naive_conv_nonpacked_fwd_nchw_half_half_half.has_recursion, 0
	.set naive_conv_nonpacked_fwd_nchw_half_half_half.has_indirect_call, 0
	.section	.AMDGPU.csdata,"",@progbits
; Kernel info:
; codeLenInByte = 2832
; TotalNumSgprs: 90
; NumVgprs: 27
; ScratchSize: 0
; MemoryBound: 0
; FloatMode: 240
; IeeeMode: 1
; LDSByteSize: 0 bytes/workgroup (compile time only)
; SGPRBlocks: 11
; VGPRBlocks: 6
; NumSGPRsForWavesPerEU: 90
; NumVGPRsForWavesPerEU: 27
; Occupancy: 8
; WaveLimiterHint : 0
; COMPUTE_PGM_RSRC2:SCRATCH_EN: 0
; COMPUTE_PGM_RSRC2:USER_SGPR: 6
; COMPUTE_PGM_RSRC2:TRAP_HANDLER: 0
; COMPUTE_PGM_RSRC2:TGID_X_EN: 1
; COMPUTE_PGM_RSRC2:TGID_Y_EN: 0
; COMPUTE_PGM_RSRC2:TGID_Z_EN: 0
; COMPUTE_PGM_RSRC2:TIDIG_COMP_CNT: 0
	.text
	.protected	naive_conv_nonpacked_bwd_nchw_half_half_half ; -- Begin function naive_conv_nonpacked_bwd_nchw_half_half_half
	.globl	naive_conv_nonpacked_bwd_nchw_half_half_half
	.p2align	8
	.type	naive_conv_nonpacked_bwd_nchw_half_half_half,@function
naive_conv_nonpacked_bwd_nchw_half_half_half: ; @naive_conv_nonpacked_bwd_nchw_half_half_half
; %bb.0:
	s_load_dwordx16 s[8:23], s[4:5], 0x18
	s_abs_i32 s33, s6
	s_waitcnt lgkmcnt(0)
	s_abs_i32 s1, s12
	v_cvt_f32_u32_e32 v1, s1
	s_sub_i32 s2, 0, s1
	s_mul_i32 s0, s12, s10
	v_rcp_iflag_f32_e32 v1, v1
	v_mul_f32_e32 v1, 0x4f7ffffe, v1
	v_cvt_u32_f32_e32 v1, v1
	v_readfirstlane_b32 s3, v1
	s_mul_i32 s2, s2, s3
	s_mul_hi_u32 s2, s3, s2
	s_add_i32 s3, s3, s2
	s_mul_hi_u32 s2, s33, s3
	s_mul_i32 s3, s2, s1
	s_sub_i32 s3, s33, s3
	s_add_i32 s7, s2, 1
	s_sub_i32 s24, s3, s1
	s_cmp_ge_u32 s3, s1
	s_cselect_b32 s2, s7, s2
	s_cselect_b32 s3, s24, s3
	s_add_i32 s7, s2, 1
	s_cmp_ge_u32 s3, s1
	s_cselect_b32 s28, s7, s2
	s_abs_i32 s34, s10
	s_abs_i32 s10, s0
	v_cvt_f32_u32_e32 v1, s34
	v_cvt_f32_u32_e32 v2, s10
	s_mul_i32 s7, s9, s8
	v_cmp_gt_i32_e32 vcc, s7, v0
	v_rcp_iflag_f32_e32 v1, v1
	v_rcp_iflag_f32_e32 v2, v2
	v_mul_f32_e32 v1, 0x4f7ffffe, v1
	v_mul_f32_e32 v2, 0x4f7ffffe, v2
	v_cvt_u32_f32_e32 v1, v1
	v_cvt_u32_f32_e32 v2, v2
	v_readfirstlane_b32 s29, v1
	v_readfirstlane_b32 s1, v2
	s_and_saveexec_b64 s[2:3], vcc
	s_cbranch_execz .LBB1_63
; %bb.1:
	s_ashr_i32 s35, s6, 31
	s_ashr_i32 s40, s12, 31
	s_xor_b32 s30, s35, s40
	s_xor_b32 s28, s28, s30
	s_sub_i32 s36, s28, s30
	s_sub_i32 s28, 0, s34
	s_mul_i32 s28, s28, s29
	s_mul_hi_u32 s28, s29, s28
	s_abs_i32 s38, s36
	s_add_i32 s29, s29, s28
	s_mul_hi_u32 s39, s38, s29
	s_load_dwordx2 s[28:29], s[4:5], 0x58
	s_ashr_i32 s41, s0, 31
	s_sub_i32 s0, 0, s10
	s_mul_i32 s0, s0, s1
	s_mul_hi_u32 s0, s1, s0
	s_ashr_i32 s37, s36, 31
	s_add_i32 s1, s1, s0
	s_waitcnt lgkmcnt(0)
	s_bitcmp1_b32 s28, 0
	s_mul_i32 s39, s39, s34
	s_mul_hi_u32 s42, s33, s1
	s_cselect_b64 s[0:1], -1, 0
	s_mul_i32 s36, s36, s12
	s_sub_i32 s28, s38, s39
	s_xor_b64 s[30:31], s[0:1], -1
	s_sub_i32 s44, s6, s36
	s_sub_i32 s36, s28, s34
	s_cmp_ge_u32 s28, s34
	s_cselect_b32 s28, s36, s28
	s_sub_i32 s36, s28, s34
	s_cmp_ge_u32 s28, s34
	s_cselect_b32 s28, s36, s28
	s_mul_i32 s34, s42, s10
	s_xor_b32 s28, s28, s37
	s_sub_i32 s33, s33, s34
	s_sub_i32 s36, s28, s37
	s_xor_b32 s28, s35, s41
	s_add_i32 s34, s42, 1
	s_sub_i32 s35, s33, s10
	s_cmp_ge_u32 s33, s10
	s_cselect_b32 s34, s34, s42
	s_cselect_b32 s33, s35, s33
	s_add_i32 s35, s34, 1
	s_cmp_ge_u32 s33, s10
	s_cselect_b32 s10, s35, s34
	s_mul_i32 s43, s23, s11
	s_mul_i32 s23, s23, s12
	s_xor_b32 s10, s10, s28
	s_sub_i32 s37, s10, s28
	s_mul_hi_i32 s28, s36, s23
	s_mul_i32 s23, s36, s23
	s_ashr_i32 s10, s9, 31
	s_ashr_i32 s41, s44, 31
	s_add_u32 s23, s23, s44
	s_mul_i32 s34, s37, s12
	s_addc_u32 s28, s28, s41
	s_mul_hi_i32 s33, s37, s12
	s_add_u32 s23, s23, s34
	s_addc_u32 s28, s28, s33
	s_load_dwordx4 s[24:27], s[4:5], 0x0
	s_load_dwordx2 s[2:3], s[4:5], 0x10
	s_mul_hi_i32 s8, s9, s8
	s_mul_i32 s28, s7, s28
	s_mul_hi_u32 s33, s7, s23
	s_add_i32 s28, s33, s28
	s_mul_i32 s8, s8, s23
	s_add_i32 s35, s28, s8
	s_mul_i32 s34, s7, s23
	s_lshl_b64 s[34:35], s[34:35], 1
	s_mul_i32 s42, s37, s11
	s_waitcnt lgkmcnt(0)
	s_add_u32 s28, s24, s34
	s_mul_hi_i32 s8, s37, s11
	s_mul_i32 s23, s42, s40
	s_mul_hi_u32 s24, s42, s12
	s_addc_u32 s33, s25, s35
	s_add_i32 s23, s24, s23
	s_mul_i32 s24, s8, s12
	s_add_i32 s45, s23, s24
	s_ashr_i32 s23, s22, 31
	s_mul_hi_i32 s24, s36, s43
	s_mul_i32 s36, s36, s43
	s_ashr_i32 s52, s13, 31
	s_ashr_i32 s53, s14, 31
	s_add_u32 s34, s42, s36
	s_addc_u32 s8, s8, s24
	s_mul_i32 s35, s14, s13
	s_mul_hi_i32 s24, s14, s13
	s_mul_i32 s8, s35, s8
	s_mul_hi_u32 s25, s35, s34
	s_add_i32 s8, s25, s8
	s_mul_i32 s24, s24, s34
	s_add_i32 s25, s8, s24
	s_mul_i32 s24, s35, s34
	s_lshl_b64 s[24:25], s[24:25], 1
	s_add_u32 s54, s2, s24
	s_addc_u32 s55, s3, s25
	s_cmp_gt_i32 s11, 0
	s_cselect_b64 s[24:25], -1, 0
	s_cmp_gt_i32 s21, 0
	s_cselect_b64 s[34:35], -1, 0
	;; [unrolled: 2-line block ×3, first 2 shown]
	s_add_u32 s38, s4, 0x60
	s_addc_u32 s39, s5, 0
	s_abs_i32 s56, s9
	v_cvt_f32_u32_e32 v1, s56
	s_abs_i32 s60, s15
	v_cvt_f32_u32_e32 v2, s60
	;; [unrolled: 2-line block ×3, first 2 shown]
	v_rcp_iflag_f32_e32 v1, v1
	v_rcp_iflag_f32_e32 v2, v2
	s_sub_i32 s2, 0, s56
	v_rcp_iflag_f32_e32 v3, v3
	v_mul_f32_e32 v1, 0x4f7ffffe, v1
	v_cvt_u32_f32_e32 v1, v1
	v_mul_f32_e32 v2, 0x4f7ffffe, v2
	v_cvt_u32_f32_e32 v5, v2
	;; [unrolled: 2-line block ×3, first 2 shown]
	v_mul_lo_u32 v4, s2, v1
	s_sub_i32 s2, 0, s60
	s_mul_i32 s42, s42, s12
	v_mul_lo_u32 v2, s2, v5
	s_sub_i32 s2, 0, s61
	s_ashr_i32 s63, s15, 31
	s_ashr_i32 s16, s16, 31
	v_mul_lo_u32 v6, s2, v3
	s_add_u32 s2, s42, s44
	s_addc_u32 s3, s45, s41
	s_mul_i32 s4, s22, s21
	s_mul_i32 s3, s4, s3
	s_mul_hi_u32 s5, s4, s2
	v_mul_hi_u32 v4, v1, v4
	s_add_i32 s3, s5, s3
	s_mul_hi_i32 s5, s22, s21
	s_mul_i32 s8, s5, s2
	s_add_i32 s3, s3, s8
	s_mul_i32 s2, s4, s2
	s_lshl_b64 s[2:3], s[2:3], 1
	v_add_u32_e32 v11, v1, v4
	v_mul_hi_u32 v1, v5, v2
	v_mul_hi_u32 v4, v3, v6
	s_add_u32 s8, s26, s2
	s_mov_b32 s57, s9
	s_addc_u32 s9, s27, s3
	s_mul_i32 s2, s4, s40
	s_mul_hi_u32 s3, s4, s12
	s_add_i32 s2, s3, s2
	s_mul_i32 s5, s5, s12
	s_add_i32 s3, s2, s5
	s_mul_i32 s2, s4, s12
	s_mov_b32 s58, s21
	s_mov_b32 s59, s13
	;; [unrolled: 1-line block ×3, first 2 shown]
	v_mov_b32_e32 v2, 0
	v_add_u32_e32 v12, v5, v1
	v_add_u32_e32 v13, v3, v4
	s_lshl_b64 s[12:13], s[2:3], 1
	s_lshl_b64 s[14:15], s[22:23], 1
	s_mov_b32 s21, 0x7000149
	s_mov_b32 s23, 0x3819f
	s_movk_i32 s64, 0x7c00
	s_movk_i32 s65, 0x80
	;; [unrolled: 1-line block ×7, first 2 shown]
	s_mov_b32 s71, 0x8000
	v_bfrev_b32_e32 v3, 4
	v_mov_b32_e32 v4, 0x7ff80000
	v_mov_b32_e32 v14, 0x3b800000
	;; [unrolled: 1-line block ×5, first 2 shown]
	s_mov_b64 s[26:27], 0
	s_branch .LBB1_4
.LBB1_2:                                ;   in Loop: Header=BB1_4 Depth=1
	v_and_or_b32 v5, v6, s68, v5
	v_cmp_ne_u32_e32 vcc, 0, v5
	v_cndmask_b32_e64 v5, 0, 1, vcc
	v_lshrrev_b32_e32 v7, 8, v6
	v_bfe_u32 v8, v6, 20, 11
	v_and_or_b32 v5, v7, s69, v5
	v_sub_u32_e32 v9, 0x3f1, v8
	v_or_b32_e32 v7, 0x1000, v5
	v_med3_i32 v9, v9, 0, 13
	v_lshrrev_b32_e32 v10, v9, v7
	v_lshlrev_b32_e32 v9, v9, v10
	v_cmp_ne_u32_e32 vcc, v9, v7
	v_cndmask_b32_e64 v7, 0, 1, vcc
	v_add_u32_e32 v8, 0xfffffc10, v8
	v_or_b32_e32 v7, v10, v7
	v_lshl_or_b32 v9, v8, 12, v5
	v_cmp_gt_i32_e32 vcc, 1, v8
	v_cndmask_b32_e32 v7, v9, v7, vcc
	v_and_b32_e32 v9, 7, v7
	v_cmp_lt_i32_e32 vcc, 5, v9
	v_cndmask_b32_e64 v10, 0, 1, vcc
	v_cmp_eq_u32_e32 vcc, 3, v9
	v_cndmask_b32_e64 v9, 0, 1, vcc
	v_or_b32_e32 v9, v9, v10
	v_lshrrev_b32_e32 v7, 2, v7
	v_add_u32_e32 v7, v7, v9
	v_cmp_gt_i32_e32 vcc, 31, v8
	v_cndmask_b32_e32 v7, v15, v7, vcc
	v_cmp_ne_u32_e32 vcc, 0, v5
	v_cndmask_b32_e32 v5, v15, v16, vcc
	v_cmp_eq_u32_e32 vcc, s70, v8
	v_cndmask_b32_e32 v5, v7, v5, vcc
	v_lshrrev_b32_e32 v6, 16, v6
	v_and_or_b32 v5, v6, s71, v5
.LBB1_3:                                ;   in Loop: Header=BB1_4 Depth=1
	v_mad_i64_i32 v[6:7], s[2:3], v18, s57, 0
	v_mov_b32_e32 v8, s33
	v_add_u32_e32 v17, 0x100, v17
	v_lshlrev_b64 v[6:7], 1, v[6:7]
	v_add_co_u32_e32 v9, vcc, s28, v6
	v_addc_co_u32_e32 v8, vcc, v8, v7, vcc
	v_lshlrev_b64 v[6:7], 1, v[1:2]
	v_add_co_u32_e32 v6, vcc, v9, v6
	v_addc_co_u32_e32 v7, vcc, v8, v7, vcc
	v_cmp_le_i32_e32 vcc, s7, v17
	s_or_b64 s[26:27], vcc, s[26:27]
	global_store_short v[6:7], v5, off
	s_andn2_b64 exec, exec, s[26:27]
	s_cbranch_execz .LBB1_63
.LBB1_4:                                ; =>This Loop Header: Depth=1
                                        ;     Child Loop BB1_7 Depth 2
                                        ;       Child Loop BB1_10 Depth 3
                                        ;         Child Loop BB1_20 Depth 4
	v_mul_hi_u32 v1, v17, v11
	v_mul_lo_u32 v5, v1, s56
	v_add_u32_e32 v6, 1, v1
	v_sub_u32_e32 v5, v17, v5
	v_cmp_le_u32_e32 vcc, s56, v5
	v_cndmask_b32_e32 v1, v1, v6, vcc
	v_subrev_u32_e32 v6, s56, v5
	v_cndmask_b32_e32 v5, v5, v6, vcc
	v_add_u32_e32 v6, 1, v1
	v_cmp_le_u32_e32 vcc, s56, v5
	v_cndmask_b32_e32 v1, v1, v6, vcc
	v_xor_b32_e32 v1, s10, v1
	v_subrev_u32_e32 v18, s10, v1
	v_mul_lo_u32 v1, v18, s57
	s_andn2_b64 vcc, exec, s[24:25]
	v_mov_b32_e32 v5, 0
	v_sub_u32_e32 v1, v17, v1
	s_cbranch_vccnz .LBB1_3
; %bb.5:                                ;   in Loop: Header=BB1_4 Depth=1
	v_mov_b32_e32 v5, 0
	v_add_u32_e32 v19, s19, v18
	v_add_u32_e32 v20, s20, v1
	s_mov_b32 s72, 0
	v_mov_b32_e32 v6, 0
	s_mov_b64 s[40:41], s[8:9]
	s_branch .LBB1_7
.LBB1_6:                                ;   in Loop: Header=BB1_7 Depth=2
	s_add_i32 s72, s72, 1
	s_add_u32 s40, s40, s12
	s_addc_u32 s41, s41, s13
	s_cmp_eq_u32 s72, s11
	s_cbranch_scc1 .LBB1_2
.LBB1_7:                                ;   Parent Loop BB1_4 Depth=1
                                        ; =>  This Loop Header: Depth=2
                                        ;       Child Loop BB1_10 Depth 3
                                        ;         Child Loop BB1_20 Depth 4
	s_andn2_b64 vcc, exec, s[34:35]
	s_cbranch_vccnz .LBB1_6
; %bb.8:                                ;   in Loop: Header=BB1_7 Depth=2
	s_mul_i32 s2, s72, s52
	s_mul_hi_u32 s3, s72, s59
	s_add_i32 s73, s3, s2
	s_mul_i32 s74, s72, s59
	s_mov_b32 s75, 0
	s_mov_b64 s[42:43], s[40:41]
	s_branch .LBB1_10
.LBB1_9:                                ;   in Loop: Header=BB1_10 Depth=3
	s_add_i32 s75, s75, 1
	s_add_u32 s42, s42, s14
	s_addc_u32 s43, s43, s15
	s_cmp_eq_u32 s75, s58
	s_cbranch_scc1 .LBB1_6
.LBB1_10:                               ;   Parent Loop BB1_4 Depth=1
                                        ;     Parent Loop BB1_7 Depth=2
                                        ; =>    This Loop Header: Depth=3
                                        ;         Child Loop BB1_20 Depth 4
	s_mul_i32 s2, s17, s75
	v_subrev_u32_e32 v21, s2, v19
	v_cmp_lt_i32_e32 vcc, -1, v21
	s_mov_b64 s[2:3], 0
                                        ; implicit-def: $vgpr9
                                        ; implicit-def: $vgpr7
                                        ; implicit-def: $vgpr8
                                        ; implicit-def: $vgpr10
	s_and_saveexec_b64 s[4:5], vcc
	s_xor_b64 s[4:5], exec, s[4:5]
	s_cbranch_execnz .LBB1_14
; %bb.11:                               ;   in Loop: Header=BB1_10 Depth=3
	s_andn2_saveexec_b64 s[4:5], s[4:5]
	s_cbranch_execnz .LBB1_15
.LBB1_12:                               ;   in Loop: Header=BB1_10 Depth=3
	s_or_b64 exec, exec, s[4:5]
	v_mov_b32_e32 v21, 1
	s_and_saveexec_b64 s[4:5], s[2:3]
	s_cbranch_execnz .LBB1_16
.LBB1_13:                               ;   in Loop: Header=BB1_10 Depth=3
	s_or_b64 exec, exec, s[4:5]
	s_andn2_b64 vcc, exec, s[36:37]
	s_cbranch_vccz .LBB1_17
	s_branch .LBB1_9
.LBB1_14:                               ;   in Loop: Header=BB1_10 Depth=3
	v_sub_u32_e32 v7, 0, v21
	v_max_i32_e32 v8, v21, v7
	v_mul_hi_u32 v7, v8, v12
	v_ashrrev_i32_e32 v9, 31, v21
	v_mul_lo_u32 v10, v7, s60
	v_sub_u32_e32 v8, v8, v10
	v_subrev_u32_e32 v10, s60, v8
	v_cmp_le_u32_e32 vcc, s60, v8
	v_cndmask_b32_e32 v21, v8, v10, vcc
	v_subrev_u32_e32 v22, s60, v21
	v_cmp_le_u32_e32 vcc, s60, v21
	v_cndmask_b32_e32 v21, v21, v22, vcc
	v_xor_b32_e32 v21, v21, v9
	v_sub_u32_e32 v21, v21, v9
	v_cmp_ne_u32_e32 vcc, 0, v21
	s_and_b64 s[2:3], vcc, exec
                                        ; implicit-def: $vgpr21
	s_andn2_saveexec_b64 s[4:5], s[4:5]
	s_cbranch_execz .LBB1_12
.LBB1_15:                               ;   in Loop: Header=BB1_10 Depth=3
	v_sub_u32_e32 v7, 0, v21
	v_max_i32_e32 v8, v21, v7
	v_mul_hi_u32 v7, v8, v12
	v_ashrrev_i32_e32 v9, 31, v21
	s_or_b64 s[2:3], s[2:3], exec
	v_mul_lo_u32 v10, v7, s60
	v_sub_u32_e32 v8, v8, v10
	v_subrev_u32_e32 v10, s60, v8
	s_or_b64 exec, exec, s[4:5]
	v_mov_b32_e32 v21, 1
	s_and_saveexec_b64 s[4:5], s[2:3]
	s_cbranch_execz .LBB1_13
.LBB1_16:                               ;   in Loop: Header=BB1_10 Depth=3
	v_mov_b32_e32 v21, 0
	s_or_b64 exec, exec, s[4:5]
	s_andn2_b64 vcc, exec, s[36:37]
	s_cbranch_vccnz .LBB1_9
.LBB1_17:                               ;   in Loop: Header=BB1_10 Depth=3
	v_add_u32_e32 v22, 1, v7
	v_cmp_le_u32_e32 vcc, s60, v8
	v_cndmask_b32_e32 v7, v7, v22, vcc
	v_cndmask_b32_e32 v8, v8, v10, vcc
	v_add_u32_e32 v10, 1, v7
	v_cmp_le_u32_e32 vcc, s60, v8
	v_xor_b32_e32 v9, s63, v9
	v_cndmask_b32_e32 v7, v7, v10, vcc
	v_xor_b32_e32 v7, v7, v9
	v_sub_u32_e32 v9, v7, v9
	v_ashrrev_i32_e32 v7, 31, v9
	v_mov_b32_e32 v8, s73
	v_add_co_u32_e32 v10, vcc, s74, v9
	v_addc_co_u32_e32 v7, vcc, v8, v7, vcc
	v_mul_lo_u32 v22, v7, s62
	v_mul_lo_u32 v23, v10, s53
	v_mad_u64_u32 v[7:8], s[2:3], v10, s62, 0
	v_cmp_gt_i32_e32 vcc, s59, v9
	v_cndmask_b32_e32 v21, 0, v21, vcc
	v_add3_u32 v8, v8, v23, v22
	v_lshlrev_b64 v[7:8], 1, v[7:8]
	v_mov_b32_e32 v9, s55
	v_add_co_u32_e32 v22, vcc, s54, v7
	v_addc_co_u32_e32 v23, vcc, v9, v8, vcc
	s_mov_b64 s[44:45], s[42:43]
	s_mov_b32 s76, s22
	v_mov_b32_e32 v24, v20
	s_branch .LBB1_20
.LBB1_18:                               ;   in Loop: Header=BB1_20 Depth=4
	s_or_b64 exec, exec, s[4:5]
	v_fma_f64 v[5:6], v[7:8], v[9:10], v[5:6]
.LBB1_19:                               ;   in Loop: Header=BB1_20 Depth=4
	s_or_b64 exec, exec, s[46:47]
	s_add_i32 s76, s76, -1
	s_add_u32 s44, s44, 2
	s_addc_u32 s45, s45, 0
	s_cmp_eq_u32 s76, 0
	v_subrev_u32_e32 v24, s18, v24
	s_cbranch_scc1 .LBB1_9
.LBB1_20:                               ;   Parent Loop BB1_4 Depth=1
                                        ;     Parent Loop BB1_7 Depth=2
                                        ;       Parent Loop BB1_10 Depth=3
                                        ; =>      This Inner Loop Header: Depth=4
	v_sub_u32_e32 v7, 0, v24
	v_cmp_lt_i32_e32 vcc, -1, v24
	s_mov_b64 s[2:3], 0
	v_ashrrev_i32_e32 v8, 31, v24
	v_max_i32_e32 v25, v24, v7
                                        ; implicit-def: $vgpr7
                                        ; implicit-def: $vgpr9
                                        ; implicit-def: $vgpr10
	s_and_saveexec_b64 s[4:5], vcc
	s_xor_b64 s[4:5], exec, s[4:5]
	s_cbranch_execnz .LBB1_44
; %bb.21:                               ;   in Loop: Header=BB1_20 Depth=4
	s_andn2_saveexec_b64 s[4:5], s[4:5]
	s_cbranch_execnz .LBB1_45
.LBB1_22:                               ;   in Loop: Header=BB1_20 Depth=4
	s_or_b64 exec, exec, s[4:5]
	v_mov_b32_e32 v25, 1
	s_and_saveexec_b64 s[4:5], s[2:3]
.LBB1_23:                               ;   in Loop: Header=BB1_20 Depth=4
	v_mov_b32_e32 v25, 0
.LBB1_24:                               ;   in Loop: Header=BB1_20 Depth=4
	s_or_b64 exec, exec, s[4:5]
	v_add_u32_e32 v26, 1, v7
	v_cmp_le_u32_e32 vcc, s61, v9
	v_cndmask_b32_e32 v7, v7, v26, vcc
	v_cndmask_b32_e32 v9, v9, v10, vcc
	v_add_u32_e32 v10, 1, v7
	v_cmp_le_u32_e32 vcc, s61, v9
	v_xor_b32_e32 v8, s16, v8
	v_cndmask_b32_e32 v7, v7, v10, vcc
	v_xor_b32_e32 v7, v7, v8
	v_sub_u32_e32 v7, v7, v8
	v_cmp_gt_i32_e32 vcc, s62, v7
	v_cndmask_b32_e32 v8, 0, v25, vcc
	v_and_b32_e32 v8, v8, v21
	v_and_b32_e32 v8, 1, v8
	v_cmp_eq_u32_e32 vcc, 1, v8
	s_and_saveexec_b64 s[46:47], vcc
	s_cbranch_execz .LBB1_19
; %bb.25:                               ;   in Loop: Header=BB1_20 Depth=4
	v_ashrrev_i32_e32 v8, 31, v7
	v_lshlrev_b64 v[7:8], 1, v[7:8]
	s_mov_b64 s[2:3], -1
	v_add_co_u32_e32 v7, vcc, v22, v7
	v_addc_co_u32_e32 v8, vcc, v23, v8, vcc
	global_load_ushort v8, v[7:8], off
	s_andn2_b64 vcc, exec, s[30:31]
	s_cbranch_vccnz .LBB1_27
; %bb.26:                               ;   in Loop: Header=BB1_20 Depth=4
	s_mov_b64 s[2:3], 0
.LBB1_27:                               ;   in Loop: Header=BB1_20 Depth=4
	v_mov_b32_e32 v10, 0
	s_andn2_b64 vcc, exec, s[2:3]
	v_mov_b32_e32 v7, 0
	s_cbranch_vccnz .LBB1_29
; %bb.28:                               ;   in Loop: Header=BB1_20 Depth=4
	global_load_ushort v7, v2, s[44:45]
	s_load_dword s2, s[38:39], 0xc
	s_waitcnt vmcnt(1)
	v_lshrrev_b32_e32 v10, 5, v8
	v_mul_lo_u32 v10, v10, s21
	s_waitcnt lgkmcnt(0)
	s_and_b32 s2, s2, 0xffff
	s_mul_i32 s2, s6, s2
	v_add_u32_e32 v9, s2, v0
	v_mul_lo_u32 v9, v9, s23
	v_xor_b32_e32 v10, s29, v10
	v_xor_b32_e32 v10, v10, v9
	;; [unrolled: 1-line block ×3, first 2 shown]
	s_waitcnt vmcnt(0)
	v_readfirstlane_b32 s2, v7
	s_lshr_b32 s2, s2, 5
	s_mul_i32 s2, s2, 0x7000149
	s_xor_b32 s2, s29, s2
	s_xor_b32 s2, s2, 0x13371337
	v_xor_b32_e32 v7, s2, v9
.LBB1_29:                               ;   in Loop: Header=BB1_20 Depth=4
	s_waitcnt vmcnt(0)
	v_and_b32_e32 v9, 0x7c00, v8
	v_cmp_ne_u32_e32 vcc, s64, v9
	v_mov_b32_e32 v25, 0x80
	v_mov_b32_e32 v9, 0x80
	s_and_saveexec_b64 s[48:49], vcc
	s_cbranch_execz .LBB1_37
; %bb.30:                               ;   in Loop: Header=BB1_20 Depth=4
	v_mov_b32_e32 v9, 0
	v_cmp_ne_u16_e32 vcc, 0, v8
	s_and_saveexec_b64 s[50:51], vcc
	s_cbranch_execz .LBB1_36
; %bb.31:                               ;   in Loop: Header=BB1_20 Depth=4
	v_bfe_u32 v26, v8, 10, 5
	v_sub_u32_e32 v27, 8, v26
	v_cmp_gt_u32_e32 vcc, 9, v26
	v_and_b32_e32 v9, 0x3ff, v8
	v_cndmask_b32_e32 v27, 0, v27, vcc
	v_cmp_eq_u32_e32 vcc, 0, v26
	v_or_b32_e32 v28, 0x400, v9
	v_cndmask_b32_e64 v27, v27, 7, vcc
	v_cndmask_b32_e32 v9, v28, v9, vcc
	v_lshl_add_u32 v28, s65, v27, -1
	v_cmp_lt_u32_e64 s[2:3], 3, v27
	v_and_b32_e32 v28, v28, v9
	v_lshlrev_b32_e64 v29, v27, 64
	v_lshrrev_b32_e32 v9, v27, v9
	v_cmp_ne_u32_e64 s[4:5], v28, v29
	v_add_u32_e32 v26, -7, v26
	s_or_b64 s[2:3], s[0:1], s[2:3]
	v_bfe_u32 v28, v9, 7, 1
	v_cndmask_b32_e64 v26, v26, -6, vcc
	v_cndmask_b32_e64 v10, v9, v10, s[0:1]
	v_add3_u32 v28, v9, v28, -1
	s_or_b64 vcc, s[2:3], s[4:5]
	v_add_u32_e32 v26, v27, v26
	v_lshrrev_b32_e32 v27, 10, v9
	v_cndmask_b32_e32 v10, v28, v10, vcc
	v_xor_b32_e32 v27, 1, v27
	v_and_b32_e32 v10, 0x7f, v10
	v_add_u32_e32 v9, v10, v9
	v_cmp_ne_u32_e32 vcc, v26, v27
                                        ; implicit-def: $vgpr10
	s_and_saveexec_b64 s[2:3], vcc
	s_xor_b64 s[2:3], exec, s[2:3]
; %bb.32:                               ;   in Loop: Header=BB1_20 Depth=4
	v_cmp_lt_u32_e32 vcc, s67, v9
	v_sub_u32_e32 v10, v26, v27
	v_cndmask_b32_e64 v26, 0, 1, vcc
	v_addc_co_u32_e32 v10, vcc, 0, v10, vcc
	v_lshrrev_b32_e32 v9, v26, v9
; %bb.33:                               ;   in Loop: Header=BB1_20 Depth=4
	s_andn2_saveexec_b64 s[2:3], s[2:3]
; %bb.34:                               ;   in Loop: Header=BB1_20 Depth=4
	v_bfe_u32 v10, v9, 10, 1
; %bb.35:                               ;   in Loop: Header=BB1_20 Depth=4
	s_or_b64 exec, exec, s[2:3]
	v_lshrrev_b32_e32 v9, 7, v9
	v_cmp_gt_i32_e32 vcc, 16, v10
	v_lshrrev_b32_e32 v8, 8, v8
	v_min_i32_e32 v26, 15, v10
	v_cndmask_b32_e32 v9, 7, v9, vcc
	v_and_b32_e32 v8, 0x80, v8
	v_or_b32_e32 v10, v10, v9
	v_and_b32_e32 v9, 7, v9
	v_lshlrev_b32_e32 v26, 3, v26
	v_or3_b32 v8, v26, v8, v9
	v_cmp_ne_u32_e32 vcc, 0, v10
	v_cndmask_b32_e32 v9, 0, v8, vcc
.LBB1_36:                               ;   in Loop: Header=BB1_20 Depth=4
	s_or_b64 exec, exec, s[50:51]
.LBB1_37:                               ;   in Loop: Header=BB1_20 Depth=4
	s_or_b64 exec, exec, s[48:49]
	global_load_ushort v8, v2, s[44:45]
	s_waitcnt vmcnt(0)
	v_readfirstlane_b32 s2, v8
	s_and_b32 s4, 0xffff, s2
	s_and_b32 s2, s4, 0x7c00
	s_cmpk_eq_i32 s2, 0x7c00
	s_cbranch_scc1 .LBB1_47
; %bb.38:                               ;   in Loop: Header=BB1_20 Depth=4
	v_cmp_eq_u32_sdwa s[2:3], v8, v2 src0_sel:WORD_0 src1_sel:DWORD
	s_and_b64 vcc, exec, s[2:3]
	s_cbranch_vccnz .LBB1_46
; %bb.39:                               ;   in Loop: Header=BB1_20 Depth=4
	s_bfe_u32 s3, s4, 0x5000a
	s_and_b32 s2, s4, 0x3ff
	s_sub_i32 s5, 8, s3
	s_cmp_lt_u32 s3, 9
	s_cselect_b32 s5, s5, 0
	s_or_b32 s48, s2, 0x400
	s_add_i32 s49, s3, -7
	s_cmp_eq_u32 s3, 0
	s_cselect_b32 s5, 7, s5
	s_cselect_b32 s48, s2, s48
	s_cselect_b32 s49, -6, s49
	s_cmp_gt_u32 s5, 3
	s_cselect_b64 s[2:3], -1, 0
	s_lshl_b32 s50, 0x80, s5
	s_add_i32 s50, s50, -1
	s_and_b32 s50, s50, s48
	s_lshl_b32 s51, 64, s5
	s_cmp_lg_u32 s50, s51
	s_cselect_b64 s[50:51], -1, 0
	s_lshr_b32 s77, s48, s5
	s_add_i32 s5, s5, s49
	s_bfe_u32 s49, s77, 0x10007
	s_add_i32 s49, s77, s49
	s_or_b64 s[2:3], s[0:1], s[2:3]
	v_mov_b32_e32 v8, s77
	s_add_i32 s49, s49, -1
	v_cndmask_b32_e64 v7, v8, v7, s[0:1]
	v_mov_b32_e32 v8, s49
	s_or_b64 vcc, s[2:3], s[50:51]
	s_lshr_b32 s48, s77, 10
	v_cndmask_b32_e32 v7, v8, v7, vcc
	s_xor_b32 s48, s48, 1
	v_and_b32_e32 v7, 0x7f, v7
	v_add_u32_e32 v7, s77, v7
	s_cmp_lg_u32 s5, s48
	s_mov_b64 s[2:3], -1
                                        ; implicit-def: $vgpr10
                                        ; implicit-def: $vgpr8
	s_cbranch_scc0 .LBB1_41
; %bb.40:                               ;   in Loop: Header=BB1_20 Depth=4
	s_sub_i32 s2, s5, s48
	v_cmp_lt_u32_e32 vcc, s67, v7
	v_cndmask_b32_e64 v10, 0, 1, vcc
	v_mov_b32_e32 v8, s2
	v_addc_co_u32_e32 v8, vcc, 0, v8, vcc
	v_lshrrev_b32_e32 v10, v10, v7
	s_mov_b64 s[2:3], 0
.LBB1_41:                               ;   in Loop: Header=BB1_20 Depth=4
	s_andn2_b64 vcc, exec, s[2:3]
	s_cbranch_vccnz .LBB1_43
; %bb.42:                               ;   in Loop: Header=BB1_20 Depth=4
	v_bfe_u32 v8, v7, 10, 1
	v_mov_b32_e32 v10, v7
.LBB1_43:                               ;   in Loop: Header=BB1_20 Depth=4
	v_lshrrev_b32_e32 v7, 7, v10
	v_cmp_gt_i32_e32 vcc, 16, v8
	s_lshr_b32 s2, s4, 8
	v_min_i32_e32 v10, 15, v8
	v_cndmask_b32_e32 v7, 7, v7, vcc
	s_and_b32 s2, s2, 0x80
	v_or_b32_e32 v8, v8, v7
	v_and_b32_e32 v7, 7, v7
	v_lshlrev_b32_e32 v10, 3, v10
	v_or3_b32 v7, v10, s2, v7
	v_cmp_ne_u32_e32 vcc, 0, v8
	v_cndmask_b32_e32 v25, 0, v7, vcc
	s_branch .LBB1_47
.LBB1_44:                               ;   in Loop: Header=BB1_20 Depth=4
	v_mul_hi_u32 v7, v25, v13
	v_ashrrev_i32_e32 v8, 31, v24
	v_mul_lo_u32 v9, v7, s61
	v_sub_u32_e32 v9, v25, v9
	v_subrev_u32_e32 v10, s61, v9
	v_cmp_le_u32_e32 vcc, s61, v9
	v_cndmask_b32_e32 v25, v9, v10, vcc
	v_subrev_u32_e32 v26, s61, v25
	v_cmp_le_u32_e32 vcc, s61, v25
	v_cndmask_b32_e32 v25, v25, v26, vcc
	v_xor_b32_e32 v25, v25, v8
	v_sub_u32_e32 v25, v25, v8
	v_cmp_ne_u32_e32 vcc, 0, v25
	s_and_b64 s[2:3], vcc, exec
                                        ; implicit-def: $vgpr25
	s_andn2_saveexec_b64 s[4:5], s[4:5]
	s_cbranch_execz .LBB1_22
.LBB1_45:                               ;   in Loop: Header=BB1_20 Depth=4
	v_mul_hi_u32 v7, v25, v13
	s_or_b64 s[2:3], s[2:3], exec
	v_mul_lo_u32 v9, v7, s61
	v_sub_u32_e32 v9, v25, v9
	v_subrev_u32_e32 v10, s61, v9
	s_or_b64 exec, exec, s[4:5]
	v_mov_b32_e32 v25, 1
	s_and_saveexec_b64 s[4:5], s[2:3]
	s_cbranch_execnz .LBB1_23
	s_branch .LBB1_24
.LBB1_46:                               ;   in Loop: Header=BB1_20 Depth=4
	v_mov_b32_e32 v25, 0
.LBB1_47:                               ;   in Loop: Header=BB1_20 Depth=4
	v_cmp_gt_i16_sdwa s[4:5], v9, s66 src0_sel:BYTE_0 src1_sel:DWORD
	s_mov_b64 s[2:3], 0
	s_and_saveexec_b64 s[48:49], s[4:5]
	s_xor_b64 s[4:5], exec, s[48:49]
	s_cbranch_execz .LBB1_51
; %bb.48:                               ;   in Loop: Header=BB1_20 Depth=4
	v_cmp_eq_u16_sdwa s[50:51], v9, s65 src0_sel:BYTE_0 src1_sel:DWORD
	s_mov_b64 s[2:3], -1
	s_and_saveexec_b64 s[48:49], s[50:51]
; %bb.49:                               ;   in Loop: Header=BB1_20 Depth=4
	s_xor_b64 s[2:3], exec, -1
; %bb.50:                               ;   in Loop: Header=BB1_20 Depth=4
	s_or_b64 exec, exec, s[48:49]
	s_and_b64 s[2:3], s[2:3], exec
.LBB1_51:                               ;   in Loop: Header=BB1_20 Depth=4
	s_or_saveexec_b64 s[4:5], s[4:5]
	v_mov_b32_e32 v8, v4
	v_mov_b32_e32 v7, v3
	s_xor_b64 exec, exec, s[4:5]
; %bb.52:                               ;   in Loop: Header=BB1_20 Depth=4
	v_cmp_ne_u16_sdwa s[48:49], v9, v2 src0_sel:BYTE_0 src1_sel:DWORD
	v_mov_b32_e32 v7, 0
	s_andn2_b64 s[2:3], s[2:3], exec
	s_and_b64 s[48:49], s[48:49], exec
	v_mov_b32_e32 v8, 0
	s_or_b64 s[2:3], s[2:3], s[48:49]
; %bb.53:                               ;   in Loop: Header=BB1_20 Depth=4
	s_or_b64 exec, exec, s[4:5]
	s_and_saveexec_b64 s[4:5], s[2:3]
	s_cbranch_execz .LBB1_55
; %bb.54:                               ;   in Loop: Header=BB1_20 Depth=4
	v_and_b32_e32 v8, 7, v9
	v_ffbh_u32_e32 v10, v8
	v_lshrrev_b16_e32 v7, 3, v9
	v_subrev_u32_e32 v26, 28, v10
	v_and_b32_e32 v7, 15, v7
	v_lshlrev_b32_e32 v26, v26, v9
	v_sub_u32_e32 v10, 29, v10
	v_and_b32_e32 v26, 7, v26
	v_cmp_eq_u32_e32 vcc, 0, v7
	v_cndmask_b32_e32 v8, v8, v26, vcc
	v_cndmask_b32_e32 v7, v7, v10, vcc
	v_lshlrev_b32_e32 v9, 24, v9
	v_lshlrev_b32_e32 v8, 20, v8
	v_and_b32_e32 v9, 0x80000000, v9
	v_lshl_add_u32 v7, v7, 23, v14
	v_or3_b32 v7, v9, v7, v8
	v_cvt_f64_f32_e32 v[7:8], v7
.LBB1_55:                               ;   in Loop: Header=BB1_20 Depth=4
	s_or_b64 exec, exec, s[4:5]
	v_cmp_gt_i16_sdwa s[4:5], v25, s66 src0_sel:BYTE_0 src1_sel:DWORD
	s_mov_b64 s[2:3], 0
	s_and_saveexec_b64 s[48:49], s[4:5]
	s_xor_b64 s[4:5], exec, s[48:49]
	s_cbranch_execz .LBB1_59
; %bb.56:                               ;   in Loop: Header=BB1_20 Depth=4
	v_cmp_eq_u16_sdwa s[50:51], v25, s65 src0_sel:BYTE_0 src1_sel:DWORD
	s_mov_b64 s[2:3], -1
	s_and_saveexec_b64 s[48:49], s[50:51]
; %bb.57:                               ;   in Loop: Header=BB1_20 Depth=4
	s_xor_b64 s[2:3], exec, -1
; %bb.58:                               ;   in Loop: Header=BB1_20 Depth=4
	s_or_b64 exec, exec, s[48:49]
	s_and_b64 s[2:3], s[2:3], exec
.LBB1_59:                               ;   in Loop: Header=BB1_20 Depth=4
	s_or_saveexec_b64 s[4:5], s[4:5]
	v_mov_b32_e32 v10, v4
	v_mov_b32_e32 v9, v3
	s_xor_b64 exec, exec, s[4:5]
; %bb.60:                               ;   in Loop: Header=BB1_20 Depth=4
	v_cmp_ne_u16_sdwa s[48:49], v25, v2 src0_sel:BYTE_0 src1_sel:DWORD
	v_mov_b32_e32 v9, 0
	s_andn2_b64 s[2:3], s[2:3], exec
	s_and_b64 s[48:49], s[48:49], exec
	v_mov_b32_e32 v10, 0
	s_or_b64 s[2:3], s[2:3], s[48:49]
; %bb.61:                               ;   in Loop: Header=BB1_20 Depth=4
	s_or_b64 exec, exec, s[4:5]
	s_and_saveexec_b64 s[4:5], s[2:3]
	s_cbranch_execz .LBB1_18
; %bb.62:                               ;   in Loop: Header=BB1_20 Depth=4
	v_and_b32_e32 v10, 7, v25
	v_ffbh_u32_e32 v26, v10
	v_lshrrev_b16_e32 v9, 3, v25
	v_subrev_u32_e32 v27, 28, v26
	v_and_b32_e32 v9, 15, v9
	v_lshlrev_b32_e32 v27, v27, v25
	v_sub_u32_e32 v26, 29, v26
	v_and_b32_e32 v27, 7, v27
	v_cmp_eq_u32_e32 vcc, 0, v9
	v_cndmask_b32_e32 v10, v10, v27, vcc
	v_cndmask_b32_e32 v9, v9, v26, vcc
	v_lshlrev_b32_e32 v25, 24, v25
	v_lshlrev_b32_e32 v10, 20, v10
	v_and_b32_e32 v25, 0x80000000, v25
	v_lshl_add_u32 v9, v9, 23, v14
	v_or3_b32 v9, v25, v9, v10
	v_cvt_f64_f32_e32 v[9:10], v9
	s_branch .LBB1_18
.LBB1_63:
	s_endpgm
	.section	.rodata,"a",@progbits
	.p2align	6, 0x0
	.amdhsa_kernel naive_conv_nonpacked_bwd_nchw_half_half_half
		.amdhsa_group_segment_fixed_size 0
		.amdhsa_private_segment_fixed_size 0
		.amdhsa_kernarg_size 352
		.amdhsa_user_sgpr_count 6
		.amdhsa_user_sgpr_private_segment_buffer 1
		.amdhsa_user_sgpr_dispatch_ptr 0
		.amdhsa_user_sgpr_queue_ptr 0
		.amdhsa_user_sgpr_kernarg_segment_ptr 1
		.amdhsa_user_sgpr_dispatch_id 0
		.amdhsa_user_sgpr_flat_scratch_init 0
		.amdhsa_user_sgpr_private_segment_size 0
		.amdhsa_uses_dynamic_stack 0
		.amdhsa_system_sgpr_private_segment_wavefront_offset 0
		.amdhsa_system_sgpr_workgroup_id_x 1
		.amdhsa_system_sgpr_workgroup_id_y 0
		.amdhsa_system_sgpr_workgroup_id_z 0
		.amdhsa_system_sgpr_workgroup_info 0
		.amdhsa_system_vgpr_workitem_id 0
		.amdhsa_next_free_vgpr 30
		.amdhsa_next_free_sgpr 78
		.amdhsa_reserve_vcc 1
		.amdhsa_reserve_flat_scratch 0
		.amdhsa_float_round_mode_32 0
		.amdhsa_float_round_mode_16_64 0
		.amdhsa_float_denorm_mode_32 3
		.amdhsa_float_denorm_mode_16_64 3
		.amdhsa_dx10_clamp 1
		.amdhsa_ieee_mode 1
		.amdhsa_fp16_overflow 0
		.amdhsa_exception_fp_ieee_invalid_op 0
		.amdhsa_exception_fp_denorm_src 0
		.amdhsa_exception_fp_ieee_div_zero 0
		.amdhsa_exception_fp_ieee_overflow 0
		.amdhsa_exception_fp_ieee_underflow 0
		.amdhsa_exception_fp_ieee_inexact 0
		.amdhsa_exception_int_div_zero 0
	.end_amdhsa_kernel
	.text
.Lfunc_end1:
	.size	naive_conv_nonpacked_bwd_nchw_half_half_half, .Lfunc_end1-naive_conv_nonpacked_bwd_nchw_half_half_half
                                        ; -- End function
	.set naive_conv_nonpacked_bwd_nchw_half_half_half.num_vgpr, 30
	.set naive_conv_nonpacked_bwd_nchw_half_half_half.num_agpr, 0
	.set naive_conv_nonpacked_bwd_nchw_half_half_half.numbered_sgpr, 78
	.set naive_conv_nonpacked_bwd_nchw_half_half_half.num_named_barrier, 0
	.set naive_conv_nonpacked_bwd_nchw_half_half_half.private_seg_size, 0
	.set naive_conv_nonpacked_bwd_nchw_half_half_half.uses_vcc, 1
	.set naive_conv_nonpacked_bwd_nchw_half_half_half.uses_flat_scratch, 0
	.set naive_conv_nonpacked_bwd_nchw_half_half_half.has_dyn_sized_stack, 0
	.set naive_conv_nonpacked_bwd_nchw_half_half_half.has_recursion, 0
	.set naive_conv_nonpacked_bwd_nchw_half_half_half.has_indirect_call, 0
	.section	.AMDGPU.csdata,"",@progbits
; Kernel info:
; codeLenInByte = 3316
; TotalNumSgprs: 82
; NumVgprs: 30
; ScratchSize: 0
; MemoryBound: 0
; FloatMode: 240
; IeeeMode: 1
; LDSByteSize: 0 bytes/workgroup (compile time only)
; SGPRBlocks: 10
; VGPRBlocks: 7
; NumSGPRsForWavesPerEU: 82
; NumVGPRsForWavesPerEU: 30
; Occupancy: 8
; WaveLimiterHint : 0
; COMPUTE_PGM_RSRC2:SCRATCH_EN: 0
; COMPUTE_PGM_RSRC2:USER_SGPR: 6
; COMPUTE_PGM_RSRC2:TRAP_HANDLER: 0
; COMPUTE_PGM_RSRC2:TGID_X_EN: 1
; COMPUTE_PGM_RSRC2:TGID_Y_EN: 0
; COMPUTE_PGM_RSRC2:TGID_Z_EN: 0
; COMPUTE_PGM_RSRC2:TIDIG_COMP_CNT: 0
	.text
	.protected	naive_conv_nonpacked_wrw_nchw_half_half_half ; -- Begin function naive_conv_nonpacked_wrw_nchw_half_half_half
	.globl	naive_conv_nonpacked_wrw_nchw_half_half_half
	.p2align	8
	.type	naive_conv_nonpacked_wrw_nchw_half_half_half,@function
naive_conv_nonpacked_wrw_nchw_half_half_half: ; @naive_conv_nonpacked_wrw_nchw_half_half_half
; %bb.0:
	s_load_dwordx16 s[8:23], s[4:5], 0x18
	s_waitcnt lgkmcnt(0)
	s_abs_i32 s33, s11
	v_cvt_f32_u32_e32 v1, s33
	s_mul_i32 s38, s22, s21
	s_mul_i32 s7, s38, s12
	v_cmp_gt_i32_e32 vcc, s7, v0
	v_rcp_iflag_f32_e32 v1, v1
	v_mul_f32_e32 v1, 0x4f7ffffe, v1
	v_cvt_u32_f32_e32 v1, v1
	v_readfirstlane_b32 s0, v1
	s_and_saveexec_b64 s[2:3], vcc
	s_cbranch_execz .LBB2_53
; %bb.1:
	s_load_dwordx2 s[28:29], s[4:5], 0x58
	s_sub_i32 s1, 0, s33
	s_mul_i32 s1, s1, s0
	s_mul_hi_u32 s1, s0, s1
	s_ashr_i32 s34, s6, 31
	s_ashr_i32 s35, s11, 31
	s_abs_i32 s36, s6
	s_add_i32 s0, s0, s1
	s_mul_hi_u32 s37, s36, s0
	s_waitcnt lgkmcnt(0)
	s_bitcmp1_b32 s28, 0
	s_cselect_b64 s[0:1], -1, 0
	s_xor_b32 s28, s34, s35
	s_mul_i32 s34, s37, s33
	s_sub_i32 s34, s36, s34
	s_xor_b64 s[30:31], s[0:1], -1
	s_add_i32 s35, s37, 1
	s_sub_i32 s36, s34, s33
	s_cmp_ge_u32 s34, s33
	s_cselect_b32 s35, s35, s37
	s_cselect_b32 s34, s36, s34
	s_add_i32 s36, s35, 1
	s_cmp_ge_u32 s34, s33
	s_cselect_b32 s33, s36, s35
	s_ashr_i32 s35, s12, 31
	s_mul_i32 s41, s9, s8
	s_xor_b32 s33, s33, s28
	s_mul_hi_i32 s40, s9, s8
	s_mul_i32 s35, s41, s35
	s_mul_hi_u32 s42, s41, s12
	s_sub_i32 s36, s33, s28
	s_add_i32 s35, s42, s35
	s_mul_i32 s40, s40, s12
	s_ashr_i32 s34, s36, 31
	s_add_i32 s35, s35, s40
	s_mul_i32 s40, s41, s12
	s_load_dwordx4 s[24:27], s[4:5], 0x0
	s_load_dwordx2 s[2:3], s[4:5], 0x10
	s_mul_i32 s34, s40, s34
	s_mul_hi_u32 s41, s40, s36
	s_add_i32 s34, s41, s34
	s_mul_i32 s35, s35, s36
	s_mul_i32 s37, s36, s11
	s_add_i32 s35, s34, s35
	s_mul_i32 s34, s40, s36
	s_sub_i32 s39, s6, s37
	s_ashr_i32 s28, s8, 31
	s_ashr_i32 s33, s9, 31
	s_lshl_b64 s[34:35], s[34:35], 1
	s_waitcnt lgkmcnt(0)
	s_add_u32 s52, s24, s34
	s_addc_u32 s53, s25, s35
	s_ashr_i32 s54, s21, 31
	s_ashr_i32 s55, s22, 31
	;; [unrolled: 1-line block ×3, first 2 shown]
	s_mul_hi_i32 s24, s36, s11
	s_add_u32 s39, s37, s39
	s_addc_u32 s40, s24, s25
	s_mul_i32 s25, s21, s12
	s_mul_hi_i32 s24, s21, s12
	s_mul_i32 s34, s25, s55
	s_mul_hi_u32 s35, s25, s22
	s_add_i32 s34, s35, s34
	s_mul_i32 s24, s24, s22
	s_add_i32 s24, s34, s24
	s_mul_i32 s34, s25, s22
	s_mul_i32 s25, s34, s40
	s_mul_hi_u32 s35, s34, s39
	s_add_i32 s25, s35, s25
	s_mul_i32 s24, s24, s39
	s_add_i32 s25, s25, s24
	s_mul_i32 s24, s34, s39
	s_lshl_b64 s[24:25], s[24:25], 1
	s_add_u32 s56, s26, s24
	s_addc_u32 s57, s27, s25
	s_ashr_i32 s41, s14, 31
	s_cmp_lt_i32 s10, 1
	s_cselect_b64 s[24:25], -1, 0
	s_cmp_gt_i32 s13, 0
	s_mul_i32 s58, s23, s12
	s_mul_i32 s12, s23, s11
	s_cselect_b64 s[26:27], -1, 0
	s_cmp_gt_i32 s14, 0
	s_cselect_b64 s[34:35], -1, 0
	s_ashr_i32 s11, s58, 31
	s_ashr_i32 s23, s12, 31
	s_add_u32 s36, s4, 0x60
	s_addc_u32 s37, s5, 0
	s_abs_i32 s60, s21
	s_abs_i32 s59, s22
	;; [unrolled: 1-line block ×3, first 2 shown]
	v_cvt_f32_u32_e32 v2, s60
	v_cvt_f32_u32_e32 v1, s59
	;; [unrolled: 1-line block ×3, first 2 shown]
	s_sub_i32 s42, 0, s59
	v_rcp_iflag_f32_e32 v2, v2
	v_rcp_iflag_f32_e32 v1, v1
	;; [unrolled: 1-line block ×3, first 2 shown]
	s_sub_i32 s43, 0, s60
	v_mul_f32_e32 v2, 0x4f7ffffe, v2
	v_mul_f32_e32 v1, 0x4f7ffffe, v1
	v_cvt_u32_f32_e32 v4, v2
	v_mul_f32_e32 v2, 0x4f7ffffe, v3
	v_cvt_u32_f32_e32 v1, v1
	v_cvt_u32_f32_e32 v3, v2
	s_sub_i32 s44, 0, s62
	s_mul_i32 s45, s14, s13
	s_mul_i32 s4, s45, s40
	s_mul_hi_u32 s5, s45, s39
	s_mul_hi_i32 s46, s14, s13
	v_mul_lo_u32 v2, s42, v1
	v_mul_lo_u32 v5, s43, v4
	;; [unrolled: 1-line block ×3, first 2 shown]
	s_add_i32 s4, s5, s4
	s_mul_i32 s5, s46, s39
	s_add_i32 s5, s4, s5
	s_mul_i32 s4, s45, s39
	s_ashr_i32 s61, s38, 31
	s_lshl_b64 s[4:5], s[4:5], 1
	s_add_u32 s38, s2, s4
	v_mul_hi_u32 v2, v1, v2
	v_mul_hi_u32 v5, v4, v5
	v_mul_hi_u32 v6, v3, v6
	s_addc_u32 s39, s3, s5
	s_mul_hi_u32 s2, s45, s12
	s_mul_i32 s3, s45, s23
	s_add_i32 s2, s2, s3
	s_mul_i32 s46, s46, s12
	s_mov_b32 s40, s14
	s_add_i32 s3, s2, s46
	s_mul_i32 s2, s45, s12
	s_mov_b32 s63, s8
	s_mov_b32 s64, s9
	;; [unrolled: 1-line block ×5, first 2 shown]
	v_add_u32_e32 v17, v1, v2
	v_mov_b32_e32 v2, 0
	v_add_u32_e32 v18, v4, v5
	v_add_u32_e32 v19, v3, v6
	s_lshl_b64 s[8:9], s[2:3], 1
	s_lshl_b64 s[12:13], s[40:41], 1
	s_sub_i32 s68, 0, s20
	s_movk_i32 s69, 0x80
	s_movk_i32 s70, 0x7f
	v_bfrev_b32_e32 v3, 4
	v_mov_b32_e32 v4, 0x7ff80000
	v_mov_b32_e32 v20, 0x3b800000
	;; [unrolled: 1-line block ×4, first 2 shown]
	s_movk_i32 s71, 0x7ff
	s_movk_i32 s72, 0x1ff
	;; [unrolled: 1-line block ×4, first 2 shown]
	s_mov_b32 s75, 0x8000
	s_mov_b64 s[20:21], 0
	s_branch .LBB2_4
.LBB2_2:                                ;   in Loop: Header=BB2_4 Depth=1
	v_and_or_b32 v1, v10, s72, v9
	v_cmp_ne_u32_e32 vcc, 0, v1
	v_cndmask_b32_e64 v1, 0, 1, vcc
	v_lshrrev_b32_e32 v9, 8, v10
	v_bfe_u32 v11, v10, 20, 11
	v_and_or_b32 v1, v9, s73, v1
	v_sub_u32_e32 v12, 0x3f1, v11
	v_or_b32_e32 v9, 0x1000, v1
	v_med3_i32 v12, v12, 0, 13
	v_lshrrev_b32_e32 v13, v12, v9
	v_lshlrev_b32_e32 v12, v12, v13
	v_cmp_ne_u32_e32 vcc, v12, v9
	v_cndmask_b32_e64 v9, 0, 1, vcc
	v_add_u32_e32 v11, 0xfffffc10, v11
	v_or_b32_e32 v9, v13, v9
	v_lshl_or_b32 v12, v11, 12, v1
	v_cmp_gt_i32_e32 vcc, 1, v11
	v_cndmask_b32_e32 v9, v12, v9, vcc
	v_and_b32_e32 v12, 7, v9
	v_cmp_lt_i32_e32 vcc, 5, v12
	v_cndmask_b32_e64 v13, 0, 1, vcc
	v_cmp_eq_u32_e32 vcc, 3, v12
	v_cndmask_b32_e64 v12, 0, 1, vcc
	v_or_b32_e32 v12, v12, v13
	v_lshrrev_b32_e32 v9, 2, v9
	v_add_u32_e32 v9, v9, v12
	v_cmp_gt_i32_e32 vcc, 31, v11
	v_cndmask_b32_e32 v9, v21, v9, vcc
	v_mov_b32_e32 v12, 0x7e00
	v_cmp_ne_u32_e32 vcc, 0, v1
	v_cndmask_b32_e32 v1, v21, v12, vcc
	v_cmp_eq_u32_e32 vcc, s74, v11
	v_cndmask_b32_e32 v1, v9, v1, vcc
	v_lshrrev_b32_e32 v9, 16, v10
	v_and_or_b32 v1, v9, s75, v1
.LBB2_3:                                ;   in Loop: Header=BB2_4 Depth=1
	v_ashrrev_i32_e32 v9, 31, v8
	v_mul_lo_u32 v10, v5, s54
	v_mul_lo_u32 v11, v6, s65
	v_mad_u64_u32 v[5:6], s[2:3], v5, s65, v[8:9]
	v_add_u32_e32 v22, 0x100, v22
	v_add3_u32 v8, v11, v6, v10
	v_mul_lo_u32 v9, v5, s55
	v_mad_u64_u32 v[5:6], s[2:3], v5, s66, 0
	v_mul_lo_u32 v8, v8, s66
	v_add3_u32 v6, v6, v9, v8
	v_lshlrev_b64 v[5:6], 1, v[5:6]
	v_mov_b32_e32 v8, v2
	v_mov_b32_e32 v9, s57
	v_add_co_u32_e32 v10, vcc, s56, v5
	v_addc_co_u32_e32 v9, vcc, v9, v6, vcc
	v_lshlrev_b64 v[5:6], 1, v[7:8]
	v_add_co_u32_e32 v5, vcc, v10, v5
	v_addc_co_u32_e32 v6, vcc, v9, v6, vcc
	v_cmp_le_i32_e32 vcc, s7, v22
	s_or_b64 s[20:21], vcc, s[20:21]
	global_store_short v[5:6], v1, off
	s_andn2_b64 exec, exec, s[20:21]
	s_cbranch_execz .LBB2_53
.LBB2_4:                                ; =>This Loop Header: Depth=1
                                        ;     Child Loop BB2_9 Depth 2
                                        ;       Child Loop BB2_12 Depth 3
                                        ;         Child Loop BB2_16 Depth 4
	v_mul_hi_u32 v1, v22, v17
	v_mul_hi_u32 v6, v22, v19
	s_mov_b64 s[4:5], -1
	v_mul_lo_u32 v5, v1, s59
	v_add_u32_e32 v7, 1, v1
	v_mul_lo_u32 v8, v6, s62
	v_add_u32_e32 v9, 1, v6
	v_sub_u32_e32 v5, v22, v5
	v_cmp_le_u32_e32 vcc, s59, v5
	v_cndmask_b32_e32 v1, v1, v7, vcc
	v_subrev_u32_e32 v7, s59, v5
	v_cndmask_b32_e32 v5, v5, v7, vcc
	v_add_u32_e32 v7, 1, v1
	v_cmp_le_u32_e32 vcc, s59, v5
	v_cndmask_b32_e32 v1, v1, v7, vcc
	v_xor_b32_e32 v1, s55, v1
	v_subrev_u32_e32 v1, s55, v1
	v_sub_u32_e32 v5, 0, v1
	v_max_i32_e32 v5, v1, v5
	v_mul_hi_u32 v7, v5, v18
	v_sub_u32_e32 v8, v22, v8
	v_cmp_le_u32_e32 vcc, s62, v8
	v_cndmask_b32_e32 v6, v6, v9, vcc
	v_mul_lo_u32 v7, v7, s60
	v_sub_u32_e32 v5, v5, v7
	v_subrev_u32_e32 v7, s60, v5
	v_cmp_le_u32_e64 s[2:3], s60, v5
	v_cndmask_b32_e64 v7, v5, v7, s[2:3]
	v_subrev_u32_e32 v5, s62, v8
	v_cndmask_b32_e32 v5, v8, v5, vcc
	v_add_u32_e32 v8, 1, v6
	v_cmp_le_u32_e32 vcc, s62, v5
	v_cndmask_b32_e32 v5, v6, v8, vcc
	v_xor_b32_e32 v5, s61, v5
	v_subrev_u32_e32 v5, s61, v5
	v_cmp_le_u32_e64 s[2:3], s60, v7
	s_andn2_b64 vcc, exec, s[24:25]
	v_ashrrev_i32_e32 v6, 31, v5
	s_cbranch_vccnz .LBB2_6
; %bb.5:                                ;   in Loop: Header=BB2_4 Depth=1
	s_mov_b64 s[4:5], 0
.LBB2_6:                                ;   in Loop: Header=BB2_4 Depth=1
	v_mul_lo_u32 v8, v1, s66
	v_subrev_u32_e32 v9, s60, v7
	v_ashrrev_i32_e32 v1, 31, v1
	v_cndmask_b32_e64 v9, v7, v9, s[2:3]
	v_sub_u32_e32 v7, v22, v8
	v_xor_b32_e32 v8, v9, v1
	v_sub_u32_e32 v8, v8, v1
	s_andn2_b64 vcc, exec, s[4:5]
	v_mov_b32_e32 v1, 0
	s_cbranch_vccnz .LBB2_3
; %bb.7:                                ;   in Loop: Header=BB2_4 Depth=1
	v_mul_lo_u32 v1, v7, s18
	v_mov_b32_e32 v9, 0
	s_mov_b32 s76, 0
	v_mov_b32_e32 v10, 0
	v_add_u32_e32 v23, s68, v1
	s_mov_b64 s[22:23], s[38:39]
	s_branch .LBB2_9
.LBB2_8:                                ;   in Loop: Header=BB2_9 Depth=2
	s_add_i32 s76, s76, 1
	s_add_u32 s22, s22, s8
	s_addc_u32 s23, s23, s9
	s_cmp_eq_u32 s76, s10
	s_cbranch_scc1 .LBB2_2
.LBB2_9:                                ;   Parent Loop BB2_4 Depth=1
                                        ; =>  This Loop Header: Depth=2
                                        ;       Child Loop BB2_12 Depth 3
                                        ;         Child Loop BB2_16 Depth 4
	s_andn2_b64 vcc, exec, s[26:27]
	s_cbranch_vccnz .LBB2_8
; %bb.10:                               ;   in Loop: Header=BB2_9 Depth=2
	v_mov_b32_e32 v1, s58
	v_mad_u64_u32 v[11:12], s[2:3], s76, v1, v[5:6]
	s_mul_i32 s2, s76, s11
	s_mov_b32 s77, 0
	v_add_u32_e32 v1, s2, v12
	v_mul_lo_u32 v13, v11, s28
	v_mad_u64_u32 v[11:12], s[2:3], v11, s63, 0
	v_mul_lo_u32 v1, v1, s63
	s_mov_b64 s[40:41], s[22:23]
	v_add3_u32 v12, v12, v13, v1
	s_branch .LBB2_12
.LBB2_11:                               ;   in Loop: Header=BB2_12 Depth=3
	s_add_i32 s77, s77, 1
	s_add_u32 s40, s40, s12
	s_addc_u32 s41, s41, s13
	s_cmp_eq_u32 s77, s67
	s_cbranch_scc1 .LBB2_8
.LBB2_12:                               ;   Parent Loop BB2_4 Depth=1
                                        ;     Parent Loop BB2_9 Depth=2
                                        ; =>    This Loop Header: Depth=3
                                        ;         Child Loop BB2_16 Depth 4
	s_andn2_b64 vcc, exec, s[34:35]
	s_cbranch_vccnz .LBB2_11
; %bb.13:                               ;   in Loop: Header=BB2_12 Depth=3
	v_mul_lo_u32 v1, v8, s17
	s_mul_i32 s2, s77, s15
	s_sub_i32 s2, s2, s19
	s_mov_b64 s[44:45], s[40:41]
	v_add_u32_e32 v1, s2, v1
	v_add_co_u32_e32 v13, vcc, v11, v1
	v_addc_co_u32_e32 v14, vcc, 0, v12, vcc
	v_mul_lo_u32 v15, v14, s64
	v_mul_lo_u32 v16, v13, s33
	v_mad_u64_u32 v[13:14], s[2:3], v13, s64, 0
	v_cmp_gt_i32_e32 vcc, 0, v1
	v_cmp_le_i32_e64 s[2:3], s63, v1
	v_add3_u32 v14, v14, v16, v15
	v_lshlrev_b64 v[13:14], 1, v[13:14]
	s_or_b64 s[42:43], vcc, s[2:3]
	v_mov_b32_e32 v1, s53
	v_add_co_u32_e32 v24, vcc, s52, v13
	v_addc_co_u32_e32 v25, vcc, v1, v14, vcc
	v_mov_b32_e32 v1, v23
	s_mov_b32 s78, s14
	s_branch .LBB2_16
.LBB2_14:                               ;   in Loop: Header=BB2_16 Depth=4
	s_or_b64 exec, exec, s[4:5]
	v_fma_f64 v[9:10], v[13:14], v[15:16], v[9:10]
.LBB2_15:                               ;   in Loop: Header=BB2_16 Depth=4
	s_or_b64 exec, exec, s[46:47]
	s_add_i32 s78, s78, -1
	s_add_u32 s44, s44, 2
	s_addc_u32 s45, s45, 0
	s_cmp_eq_u32 s78, 0
	v_add_u32_e32 v1, s16, v1
	s_cbranch_scc1 .LBB2_11
.LBB2_16:                               ;   Parent Loop BB2_4 Depth=1
                                        ;     Parent Loop BB2_9 Depth=2
                                        ;       Parent Loop BB2_12 Depth=3
                                        ; =>      This Inner Loop Header: Depth=4
	v_cmp_gt_i32_e32 vcc, 0, v1
	v_cmp_le_i32_e64 s[2:3], s64, v1
	s_or_b64 s[2:3], vcc, s[2:3]
	s_nor_b64 s[2:3], s[42:43], s[2:3]
	s_and_saveexec_b64 s[46:47], s[2:3]
	s_cbranch_execz .LBB2_15
; %bb.17:                               ;   in Loop: Header=BB2_16 Depth=4
	v_lshlrev_b64 v[13:14], 1, v[1:2]
	s_mov_b64 s[2:3], -1
	v_add_co_u32_e32 v13, vcc, v24, v13
	v_addc_co_u32_e32 v14, vcc, v25, v14, vcc
	global_load_ushort v14, v[13:14], off
	s_andn2_b64 vcc, exec, s[30:31]
	s_cbranch_vccnz .LBB2_19
; %bb.18:                               ;   in Loop: Header=BB2_16 Depth=4
	s_mov_b64 s[2:3], 0
.LBB2_19:                               ;   in Loop: Header=BB2_16 Depth=4
	v_mov_b32_e32 v16, 0
	s_andn2_b64 vcc, exec, s[2:3]
	v_mov_b32_e32 v13, 0
	s_cbranch_vccnz .LBB2_21
; %bb.20:                               ;   in Loop: Header=BB2_16 Depth=4
	global_load_ushort v13, v2, s[44:45]
	s_load_dword s2, s[36:37], 0xc
	s_waitcnt vmcnt(1)
	v_lshrrev_b32_e32 v16, 5, v14
	s_waitcnt lgkmcnt(0)
	s_and_b32 s2, s2, 0xffff
	s_mul_i32 s2, s6, s2
	v_add_u32_e32 v15, s2, v0
	s_mov_b32 s2, 0x7000149
	v_mul_lo_u32 v16, v16, s2
	s_mov_b32 s2, 0x3819f
	v_mul_lo_u32 v15, v15, s2
	v_xor_b32_e32 v16, s29, v16
	v_xor_b32_e32 v16, v16, v15
	;; [unrolled: 1-line block ×3, first 2 shown]
	s_waitcnt vmcnt(0)
	v_readfirstlane_b32 s2, v13
	s_lshr_b32 s2, s2, 5
	s_mul_i32 s2, s2, 0x7000149
	s_xor_b32 s2, s29, s2
	s_xor_b32 s2, s2, 0x13371337
	v_xor_b32_e32 v13, s2, v15
.LBB2_21:                               ;   in Loop: Header=BB2_16 Depth=4
	s_waitcnt vmcnt(0)
	v_and_b32_e32 v15, 0x7c00, v14
	s_movk_i32 s2, 0x7c00
	v_cmp_ne_u32_e32 vcc, s2, v15
	v_mov_b32_e32 v26, 0x80
	v_mov_b32_e32 v15, 0x80
	s_and_saveexec_b64 s[48:49], vcc
	s_cbranch_execz .LBB2_29
; %bb.22:                               ;   in Loop: Header=BB2_16 Depth=4
	v_mov_b32_e32 v15, 0
	v_cmp_ne_u16_e32 vcc, 0, v14
	s_and_saveexec_b64 s[50:51], vcc
	s_cbranch_execz .LBB2_28
; %bb.23:                               ;   in Loop: Header=BB2_16 Depth=4
	v_bfe_u32 v27, v14, 10, 5
	v_sub_u32_e32 v28, 8, v27
	v_cmp_gt_u32_e32 vcc, 9, v27
	v_and_b32_e32 v15, 0x3ff, v14
	v_cndmask_b32_e32 v28, 0, v28, vcc
	v_cmp_eq_u32_e32 vcc, 0, v27
	v_or_b32_e32 v29, 0x400, v15
	v_cndmask_b32_e64 v28, v28, 7, vcc
	v_cndmask_b32_e32 v15, v29, v15, vcc
	v_lshl_add_u32 v29, s69, v28, -1
	v_cmp_lt_u32_e64 s[2:3], 3, v28
	v_and_b32_e32 v29, v29, v15
	v_lshlrev_b32_e64 v30, v28, 64
	v_lshrrev_b32_e32 v15, v28, v15
	v_cmp_ne_u32_e64 s[4:5], v29, v30
	v_add_u32_e32 v27, -7, v27
	s_or_b64 s[2:3], s[0:1], s[2:3]
	v_bfe_u32 v29, v15, 7, 1
	v_cndmask_b32_e64 v27, v27, -6, vcc
	v_cndmask_b32_e64 v16, v15, v16, s[0:1]
	v_add3_u32 v29, v15, v29, -1
	s_or_b64 vcc, s[2:3], s[4:5]
	v_add_u32_e32 v27, v28, v27
	v_lshrrev_b32_e32 v28, 10, v15
	v_cndmask_b32_e32 v16, v29, v16, vcc
	v_xor_b32_e32 v28, 1, v28
	v_and_b32_e32 v16, 0x7f, v16
	v_add_u32_e32 v15, v16, v15
	v_cmp_ne_u32_e32 vcc, v27, v28
                                        ; implicit-def: $vgpr16
	s_and_saveexec_b64 s[2:3], vcc
	s_xor_b64 s[2:3], exec, s[2:3]
; %bb.24:                               ;   in Loop: Header=BB2_16 Depth=4
	v_cmp_lt_u32_e32 vcc, s71, v15
	v_sub_u32_e32 v16, v27, v28
	v_cndmask_b32_e64 v27, 0, 1, vcc
	v_addc_co_u32_e32 v16, vcc, 0, v16, vcc
	v_lshrrev_b32_e32 v15, v27, v15
; %bb.25:                               ;   in Loop: Header=BB2_16 Depth=4
	s_andn2_saveexec_b64 s[2:3], s[2:3]
; %bb.26:                               ;   in Loop: Header=BB2_16 Depth=4
	v_bfe_u32 v16, v15, 10, 1
; %bb.27:                               ;   in Loop: Header=BB2_16 Depth=4
	s_or_b64 exec, exec, s[2:3]
	v_lshrrev_b32_e32 v15, 7, v15
	v_cmp_gt_i32_e32 vcc, 16, v16
	v_lshrrev_b32_e32 v14, 8, v14
	v_min_i32_e32 v27, 15, v16
	v_cndmask_b32_e32 v15, 7, v15, vcc
	v_and_b32_e32 v14, 0x80, v14
	v_or_b32_e32 v16, v16, v15
	v_and_b32_e32 v15, 7, v15
	v_lshlrev_b32_e32 v27, 3, v27
	v_or3_b32 v14, v27, v14, v15
	v_cmp_ne_u32_e32 vcc, 0, v16
	v_cndmask_b32_e32 v15, 0, v14, vcc
.LBB2_28:                               ;   in Loop: Header=BB2_16 Depth=4
	s_or_b64 exec, exec, s[50:51]
.LBB2_29:                               ;   in Loop: Header=BB2_16 Depth=4
	s_or_b64 exec, exec, s[48:49]
	global_load_ushort v14, v2, s[44:45]
	s_waitcnt vmcnt(0)
	v_readfirstlane_b32 s2, v14
	s_and_b32 s4, 0xffff, s2
	s_and_b32 s2, s4, 0x7c00
	s_cmpk_eq_i32 s2, 0x7c00
	s_cbranch_scc1 .LBB2_37
; %bb.30:                               ;   in Loop: Header=BB2_16 Depth=4
	v_cmp_eq_u32_sdwa s[2:3], v14, v2 src0_sel:WORD_0 src1_sel:DWORD
	s_and_b64 vcc, exec, s[2:3]
	s_cbranch_vccnz .LBB2_36
; %bb.31:                               ;   in Loop: Header=BB2_16 Depth=4
	s_bfe_u32 s3, s4, 0x5000a
	s_and_b32 s2, s4, 0x3ff
	s_sub_i32 s5, 8, s3
	s_cmp_lt_u32 s3, 9
	s_cselect_b32 s5, s5, 0
	s_or_b32 s48, s2, 0x400
	s_add_i32 s49, s3, -7
	s_cmp_eq_u32 s3, 0
	s_cselect_b32 s5, 7, s5
	s_cselect_b32 s48, s2, s48
	s_cselect_b32 s49, -6, s49
	s_cmp_gt_u32 s5, 3
	s_cselect_b64 s[2:3], -1, 0
	s_lshl_b32 s50, 0x80, s5
	s_add_i32 s50, s50, -1
	s_and_b32 s50, s50, s48
	s_lshl_b32 s51, 64, s5
	s_cmp_lg_u32 s50, s51
	s_cselect_b64 s[50:51], -1, 0
	s_lshr_b32 s79, s48, s5
	s_add_i32 s5, s5, s49
	s_bfe_u32 s49, s79, 0x10007
	s_add_i32 s49, s79, s49
	s_or_b64 s[2:3], s[0:1], s[2:3]
	v_mov_b32_e32 v14, s79
	s_add_i32 s49, s49, -1
	v_cndmask_b32_e64 v13, v14, v13, s[0:1]
	v_mov_b32_e32 v14, s49
	s_or_b64 vcc, s[2:3], s[50:51]
	s_lshr_b32 s48, s79, 10
	v_cndmask_b32_e32 v13, v14, v13, vcc
	s_xor_b32 s48, s48, 1
	v_and_b32_e32 v13, 0x7f, v13
	v_add_u32_e32 v13, s79, v13
	s_cmp_lg_u32 s5, s48
	s_mov_b64 s[2:3], -1
                                        ; implicit-def: $vgpr16
                                        ; implicit-def: $vgpr14
	s_cbranch_scc0 .LBB2_33
; %bb.32:                               ;   in Loop: Header=BB2_16 Depth=4
	s_sub_i32 s2, s5, s48
	v_cmp_lt_u32_e32 vcc, s71, v13
	v_cndmask_b32_e64 v16, 0, 1, vcc
	v_mov_b32_e32 v14, s2
	v_addc_co_u32_e32 v14, vcc, 0, v14, vcc
	v_lshrrev_b32_e32 v16, v16, v13
	s_mov_b64 s[2:3], 0
.LBB2_33:                               ;   in Loop: Header=BB2_16 Depth=4
	s_andn2_b64 vcc, exec, s[2:3]
	s_cbranch_vccnz .LBB2_35
; %bb.34:                               ;   in Loop: Header=BB2_16 Depth=4
	v_bfe_u32 v14, v13, 10, 1
	v_mov_b32_e32 v16, v13
.LBB2_35:                               ;   in Loop: Header=BB2_16 Depth=4
	v_lshrrev_b32_e32 v13, 7, v16
	v_cmp_gt_i32_e32 vcc, 16, v14
	s_lshr_b32 s2, s4, 8
	v_min_i32_e32 v16, 15, v14
	v_cndmask_b32_e32 v13, 7, v13, vcc
	s_and_b32 s2, s2, 0x80
	v_or_b32_e32 v14, v14, v13
	v_and_b32_e32 v13, 7, v13
	v_lshlrev_b32_e32 v16, 3, v16
	v_or3_b32 v13, v16, s2, v13
	v_cmp_ne_u32_e32 vcc, 0, v14
	v_cndmask_b32_e32 v26, 0, v13, vcc
	s_branch .LBB2_37
.LBB2_36:                               ;   in Loop: Header=BB2_16 Depth=4
	v_mov_b32_e32 v26, 0
.LBB2_37:                               ;   in Loop: Header=BB2_16 Depth=4
	v_cmp_gt_i16_sdwa s[4:5], v15, s70 src0_sel:BYTE_0 src1_sel:DWORD
	s_mov_b64 s[2:3], 0
	s_and_saveexec_b64 s[48:49], s[4:5]
	s_xor_b64 s[4:5], exec, s[48:49]
	s_cbranch_execz .LBB2_41
; %bb.38:                               ;   in Loop: Header=BB2_16 Depth=4
	v_cmp_eq_u16_sdwa s[50:51], v15, s69 src0_sel:BYTE_0 src1_sel:DWORD
	s_mov_b64 s[2:3], -1
	s_and_saveexec_b64 s[48:49], s[50:51]
; %bb.39:                               ;   in Loop: Header=BB2_16 Depth=4
	s_xor_b64 s[2:3], exec, -1
; %bb.40:                               ;   in Loop: Header=BB2_16 Depth=4
	s_or_b64 exec, exec, s[48:49]
	s_and_b64 s[2:3], s[2:3], exec
.LBB2_41:                               ;   in Loop: Header=BB2_16 Depth=4
	s_or_saveexec_b64 s[4:5], s[4:5]
	v_mov_b32_e32 v14, v4
	v_mov_b32_e32 v13, v3
	s_xor_b64 exec, exec, s[4:5]
; %bb.42:                               ;   in Loop: Header=BB2_16 Depth=4
	v_cmp_ne_u16_sdwa s[48:49], v15, v2 src0_sel:BYTE_0 src1_sel:DWORD
	v_mov_b32_e32 v13, 0
	s_andn2_b64 s[2:3], s[2:3], exec
	s_and_b64 s[48:49], s[48:49], exec
	v_mov_b32_e32 v14, 0
	s_or_b64 s[2:3], s[2:3], s[48:49]
; %bb.43:                               ;   in Loop: Header=BB2_16 Depth=4
	s_or_b64 exec, exec, s[4:5]
	s_and_saveexec_b64 s[4:5], s[2:3]
	s_cbranch_execz .LBB2_45
; %bb.44:                               ;   in Loop: Header=BB2_16 Depth=4
	v_and_b32_e32 v14, 7, v15
	v_ffbh_u32_e32 v16, v14
	v_lshrrev_b16_e32 v13, 3, v15
	v_subrev_u32_e32 v27, 28, v16
	v_and_b32_e32 v13, 15, v13
	v_lshlrev_b32_e32 v27, v27, v15
	v_sub_u32_e32 v16, 29, v16
	v_and_b32_e32 v27, 7, v27
	v_cmp_eq_u32_e32 vcc, 0, v13
	v_cndmask_b32_e32 v14, v14, v27, vcc
	v_cndmask_b32_e32 v13, v13, v16, vcc
	v_lshlrev_b32_e32 v15, 24, v15
	v_lshlrev_b32_e32 v14, 20, v14
	v_and_b32_e32 v15, 0x80000000, v15
	v_lshl_add_u32 v13, v13, 23, v20
	v_or3_b32 v13, v15, v13, v14
	v_cvt_f64_f32_e32 v[13:14], v13
.LBB2_45:                               ;   in Loop: Header=BB2_16 Depth=4
	s_or_b64 exec, exec, s[4:5]
	v_cmp_gt_i16_sdwa s[4:5], v26, s70 src0_sel:BYTE_0 src1_sel:DWORD
	s_mov_b64 s[2:3], 0
	s_and_saveexec_b64 s[48:49], s[4:5]
	s_xor_b64 s[4:5], exec, s[48:49]
	s_cbranch_execz .LBB2_49
; %bb.46:                               ;   in Loop: Header=BB2_16 Depth=4
	v_cmp_eq_u16_sdwa s[50:51], v26, s69 src0_sel:BYTE_0 src1_sel:DWORD
	s_mov_b64 s[2:3], -1
	s_and_saveexec_b64 s[48:49], s[50:51]
; %bb.47:                               ;   in Loop: Header=BB2_16 Depth=4
	s_xor_b64 s[2:3], exec, -1
; %bb.48:                               ;   in Loop: Header=BB2_16 Depth=4
	s_or_b64 exec, exec, s[48:49]
	s_and_b64 s[2:3], s[2:3], exec
.LBB2_49:                               ;   in Loop: Header=BB2_16 Depth=4
	s_or_saveexec_b64 s[4:5], s[4:5]
	v_mov_b32_e32 v16, v4
	v_mov_b32_e32 v15, v3
	s_xor_b64 exec, exec, s[4:5]
; %bb.50:                               ;   in Loop: Header=BB2_16 Depth=4
	v_cmp_ne_u16_sdwa s[48:49], v26, v2 src0_sel:BYTE_0 src1_sel:DWORD
	v_mov_b32_e32 v15, 0
	s_andn2_b64 s[2:3], s[2:3], exec
	s_and_b64 s[48:49], s[48:49], exec
	v_mov_b32_e32 v16, 0
	s_or_b64 s[2:3], s[2:3], s[48:49]
; %bb.51:                               ;   in Loop: Header=BB2_16 Depth=4
	s_or_b64 exec, exec, s[4:5]
	s_and_saveexec_b64 s[4:5], s[2:3]
	s_cbranch_execz .LBB2_14
; %bb.52:                               ;   in Loop: Header=BB2_16 Depth=4
	v_and_b32_e32 v16, 7, v26
	v_ffbh_u32_e32 v27, v16
	v_lshrrev_b16_e32 v15, 3, v26
	v_subrev_u32_e32 v28, 28, v27
	v_and_b32_e32 v15, 15, v15
	v_lshlrev_b32_e32 v28, v28, v26
	v_sub_u32_e32 v27, 29, v27
	v_and_b32_e32 v28, 7, v28
	v_cmp_eq_u32_e32 vcc, 0, v15
	v_cndmask_b32_e32 v16, v16, v28, vcc
	v_cndmask_b32_e32 v15, v15, v27, vcc
	v_lshlrev_b32_e32 v26, 24, v26
	v_lshlrev_b32_e32 v16, 20, v16
	v_and_b32_e32 v26, 0x80000000, v26
	v_lshl_add_u32 v15, v15, 23, v20
	v_or3_b32 v15, v26, v15, v16
	v_cvt_f64_f32_e32 v[15:16], v15
	s_branch .LBB2_14
.LBB2_53:
	s_endpgm
	.section	.rodata,"a",@progbits
	.p2align	6, 0x0
	.amdhsa_kernel naive_conv_nonpacked_wrw_nchw_half_half_half
		.amdhsa_group_segment_fixed_size 0
		.amdhsa_private_segment_fixed_size 0
		.amdhsa_kernarg_size 352
		.amdhsa_user_sgpr_count 6
		.amdhsa_user_sgpr_private_segment_buffer 1
		.amdhsa_user_sgpr_dispatch_ptr 0
		.amdhsa_user_sgpr_queue_ptr 0
		.amdhsa_user_sgpr_kernarg_segment_ptr 1
		.amdhsa_user_sgpr_dispatch_id 0
		.amdhsa_user_sgpr_flat_scratch_init 0
		.amdhsa_user_sgpr_private_segment_size 0
		.amdhsa_uses_dynamic_stack 0
		.amdhsa_system_sgpr_private_segment_wavefront_offset 0
		.amdhsa_system_sgpr_workgroup_id_x 1
		.amdhsa_system_sgpr_workgroup_id_y 0
		.amdhsa_system_sgpr_workgroup_id_z 0
		.amdhsa_system_sgpr_workgroup_info 0
		.amdhsa_system_vgpr_workitem_id 0
		.amdhsa_next_free_vgpr 31
		.amdhsa_next_free_sgpr 80
		.amdhsa_reserve_vcc 1
		.amdhsa_reserve_flat_scratch 0
		.amdhsa_float_round_mode_32 0
		.amdhsa_float_round_mode_16_64 0
		.amdhsa_float_denorm_mode_32 3
		.amdhsa_float_denorm_mode_16_64 3
		.amdhsa_dx10_clamp 1
		.amdhsa_ieee_mode 1
		.amdhsa_fp16_overflow 0
		.amdhsa_exception_fp_ieee_invalid_op 0
		.amdhsa_exception_fp_denorm_src 0
		.amdhsa_exception_fp_ieee_div_zero 0
		.amdhsa_exception_fp_ieee_overflow 0
		.amdhsa_exception_fp_ieee_underflow 0
		.amdhsa_exception_fp_ieee_inexact 0
		.amdhsa_exception_int_div_zero 0
	.end_amdhsa_kernel
	.text
.Lfunc_end2:
	.size	naive_conv_nonpacked_wrw_nchw_half_half_half, .Lfunc_end2-naive_conv_nonpacked_wrw_nchw_half_half_half
                                        ; -- End function
	.set naive_conv_nonpacked_wrw_nchw_half_half_half.num_vgpr, 31
	.set naive_conv_nonpacked_wrw_nchw_half_half_half.num_agpr, 0
	.set naive_conv_nonpacked_wrw_nchw_half_half_half.numbered_sgpr, 80
	.set naive_conv_nonpacked_wrw_nchw_half_half_half.num_named_barrier, 0
	.set naive_conv_nonpacked_wrw_nchw_half_half_half.private_seg_size, 0
	.set naive_conv_nonpacked_wrw_nchw_half_half_half.uses_vcc, 1
	.set naive_conv_nonpacked_wrw_nchw_half_half_half.uses_flat_scratch, 0
	.set naive_conv_nonpacked_wrw_nchw_half_half_half.has_dyn_sized_stack, 0
	.set naive_conv_nonpacked_wrw_nchw_half_half_half.has_recursion, 0
	.set naive_conv_nonpacked_wrw_nchw_half_half_half.has_indirect_call, 0
	.section	.AMDGPU.csdata,"",@progbits
; Kernel info:
; codeLenInByte = 2928
; TotalNumSgprs: 84
; NumVgprs: 31
; ScratchSize: 0
; MemoryBound: 0
; FloatMode: 240
; IeeeMode: 1
; LDSByteSize: 0 bytes/workgroup (compile time only)
; SGPRBlocks: 10
; VGPRBlocks: 7
; NumSGPRsForWavesPerEU: 84
; NumVGPRsForWavesPerEU: 31
; Occupancy: 8
; WaveLimiterHint : 0
; COMPUTE_PGM_RSRC2:SCRATCH_EN: 0
; COMPUTE_PGM_RSRC2:USER_SGPR: 6
; COMPUTE_PGM_RSRC2:TRAP_HANDLER: 0
; COMPUTE_PGM_RSRC2:TGID_X_EN: 1
; COMPUTE_PGM_RSRC2:TGID_Y_EN: 0
; COMPUTE_PGM_RSRC2:TGID_Z_EN: 0
; COMPUTE_PGM_RSRC2:TIDIG_COMP_CNT: 0
	.section	.AMDGPU.gpr_maximums,"",@progbits
	.set amdgpu.max_num_vgpr, 0
	.set amdgpu.max_num_agpr, 0
	.set amdgpu.max_num_sgpr, 0
	.section	.AMDGPU.csdata,"",@progbits
	.type	__hip_cuid_eb99ae1ca0d5f16,@object ; @__hip_cuid_eb99ae1ca0d5f16
	.section	.bss,"aw",@nobits
	.globl	__hip_cuid_eb99ae1ca0d5f16
__hip_cuid_eb99ae1ca0d5f16:
	.byte	0                               ; 0x0
	.size	__hip_cuid_eb99ae1ca0d5f16, 1

	.ident	"AMD clang version 22.0.0git (https://github.com/RadeonOpenCompute/llvm-project roc-7.2.4 26084 f58b06dce1f9c15707c5f808fd002e18c2accf7e)"
	.section	".note.GNU-stack","",@progbits
	.addrsig
	.addrsig_sym __hip_cuid_eb99ae1ca0d5f16
	.amdgpu_metadata
---
amdhsa.kernels:
  - .args:
      - .actual_access:  read_only
        .address_space:  global
        .offset:         0
        .size:           8
        .value_kind:     global_buffer
      - .actual_access:  read_only
        .address_space:  global
        .offset:         8
        .size:           8
        .value_kind:     global_buffer
      - .actual_access:  write_only
        .address_space:  global
        .offset:         16
        .size:           8
        .value_kind:     global_buffer
      - .offset:         24
        .size:           4
        .value_kind:     by_value
      - .offset:         28
        .size:           4
        .value_kind:     by_value
      - .offset:         32
        .size:           4
        .value_kind:     by_value
      - .offset:         36
        .size:           4
        .value_kind:     by_value
      - .offset:         40
        .size:           4
        .value_kind:     by_value
      - .offset:         44
        .size:           4
        .value_kind:     by_value
      - .offset:         48
        .size:           4
        .value_kind:     by_value
      - .offset:         52
        .size:           4
        .value_kind:     by_value
      - .offset:         56
        .size:           4
        .value_kind:     by_value
      - .offset:         60
        .size:           4
        .value_kind:     by_value
      - .offset:         64
        .size:           4
        .value_kind:     by_value
      - .offset:         68
        .size:           4
        .value_kind:     by_value
      - .offset:         72
        .size:           4
        .value_kind:     by_value
      - .offset:         76
        .size:           4
        .value_kind:     by_value
      - .offset:         80
        .size:           4
        .value_kind:     by_value
      - .offset:         84
        .size:           4
        .value_kind:     by_value
      - .offset:         88
        .size:           1
        .value_kind:     by_value
      - .offset:         92
        .size:           4
        .value_kind:     by_value
      - .offset:         96
        .size:           4
        .value_kind:     hidden_block_count_x
      - .offset:         100
        .size:           4
        .value_kind:     hidden_block_count_y
      - .offset:         104
        .size:           4
        .value_kind:     hidden_block_count_z
      - .offset:         108
        .size:           2
        .value_kind:     hidden_group_size_x
      - .offset:         110
        .size:           2
        .value_kind:     hidden_group_size_y
      - .offset:         112
        .size:           2
        .value_kind:     hidden_group_size_z
      - .offset:         114
        .size:           2
        .value_kind:     hidden_remainder_x
      - .offset:         116
        .size:           2
        .value_kind:     hidden_remainder_y
      - .offset:         118
        .size:           2
        .value_kind:     hidden_remainder_z
      - .offset:         136
        .size:           8
        .value_kind:     hidden_global_offset_x
      - .offset:         144
        .size:           8
        .value_kind:     hidden_global_offset_y
      - .offset:         152
        .size:           8
        .value_kind:     hidden_global_offset_z
      - .offset:         160
        .size:           2
        .value_kind:     hidden_grid_dims
    .group_segment_fixed_size: 0
    .kernarg_segment_align: 8
    .kernarg_segment_size: 352
    .language:       OpenCL C
    .language_version:
      - 2
      - 0
    .max_flat_workgroup_size: 1024
    .name:           naive_conv_nonpacked_fwd_nchw_half_half_half
    .private_segment_fixed_size: 0
    .sgpr_count:     90
    .sgpr_spill_count: 0
    .symbol:         naive_conv_nonpacked_fwd_nchw_half_half_half.kd
    .uniform_work_group_size: 1
    .uses_dynamic_stack: false
    .vgpr_count:     27
    .vgpr_spill_count: 0
    .wavefront_size: 64
  - .args:
      - .actual_access:  write_only
        .address_space:  global
        .offset:         0
        .size:           8
        .value_kind:     global_buffer
      - .actual_access:  read_only
        .address_space:  global
        .offset:         8
        .size:           8
        .value_kind:     global_buffer
      - .actual_access:  read_only
        .address_space:  global
        .offset:         16
        .size:           8
        .value_kind:     global_buffer
      - .offset:         24
        .size:           4
        .value_kind:     by_value
      - .offset:         28
        .size:           4
        .value_kind:     by_value
      - .offset:         32
        .size:           4
        .value_kind:     by_value
      - .offset:         36
        .size:           4
        .value_kind:     by_value
      - .offset:         40
        .size:           4
        .value_kind:     by_value
      - .offset:         44
        .size:           4
        .value_kind:     by_value
      - .offset:         48
        .size:           4
        .value_kind:     by_value
      - .offset:         52
        .size:           4
        .value_kind:     by_value
      - .offset:         56
        .size:           4
        .value_kind:     by_value
      - .offset:         60
        .size:           4
        .value_kind:     by_value
      - .offset:         64
        .size:           4
        .value_kind:     by_value
      - .offset:         68
        .size:           4
        .value_kind:     by_value
      - .offset:         72
        .size:           4
        .value_kind:     by_value
      - .offset:         76
        .size:           4
        .value_kind:     by_value
      - .offset:         80
        .size:           4
        .value_kind:     by_value
      - .offset:         84
        .size:           4
        .value_kind:     by_value
      - .offset:         88
        .size:           1
        .value_kind:     by_value
      - .offset:         92
        .size:           4
        .value_kind:     by_value
      - .offset:         96
        .size:           4
        .value_kind:     hidden_block_count_x
      - .offset:         100
        .size:           4
        .value_kind:     hidden_block_count_y
      - .offset:         104
        .size:           4
        .value_kind:     hidden_block_count_z
      - .offset:         108
        .size:           2
        .value_kind:     hidden_group_size_x
      - .offset:         110
        .size:           2
        .value_kind:     hidden_group_size_y
      - .offset:         112
        .size:           2
        .value_kind:     hidden_group_size_z
      - .offset:         114
        .size:           2
        .value_kind:     hidden_remainder_x
      - .offset:         116
        .size:           2
        .value_kind:     hidden_remainder_y
      - .offset:         118
        .size:           2
        .value_kind:     hidden_remainder_z
      - .offset:         136
        .size:           8
        .value_kind:     hidden_global_offset_x
      - .offset:         144
        .size:           8
        .value_kind:     hidden_global_offset_y
      - .offset:         152
        .size:           8
        .value_kind:     hidden_global_offset_z
      - .offset:         160
        .size:           2
        .value_kind:     hidden_grid_dims
    .group_segment_fixed_size: 0
    .kernarg_segment_align: 8
    .kernarg_segment_size: 352
    .language:       OpenCL C
    .language_version:
      - 2
      - 0
    .max_flat_workgroup_size: 1024
    .name:           naive_conv_nonpacked_bwd_nchw_half_half_half
    .private_segment_fixed_size: 0
    .sgpr_count:     82
    .sgpr_spill_count: 0
    .symbol:         naive_conv_nonpacked_bwd_nchw_half_half_half.kd
    .uniform_work_group_size: 1
    .uses_dynamic_stack: false
    .vgpr_count:     30
    .vgpr_spill_count: 0
    .wavefront_size: 64
  - .args:
      - .actual_access:  read_only
        .address_space:  global
        .offset:         0
        .size:           8
        .value_kind:     global_buffer
      - .actual_access:  write_only
        .address_space:  global
        .offset:         8
        .size:           8
        .value_kind:     global_buffer
      - .actual_access:  read_only
        .address_space:  global
        .offset:         16
        .size:           8
        .value_kind:     global_buffer
      - .offset:         24
        .size:           4
        .value_kind:     by_value
      - .offset:         28
        .size:           4
        .value_kind:     by_value
      - .offset:         32
        .size:           4
        .value_kind:     by_value
      - .offset:         36
        .size:           4
        .value_kind:     by_value
      - .offset:         40
        .size:           4
        .value_kind:     by_value
      - .offset:         44
        .size:           4
        .value_kind:     by_value
      - .offset:         48
        .size:           4
        .value_kind:     by_value
      - .offset:         52
        .size:           4
        .value_kind:     by_value
      - .offset:         56
        .size:           4
        .value_kind:     by_value
      - .offset:         60
        .size:           4
        .value_kind:     by_value
      - .offset:         64
        .size:           4
        .value_kind:     by_value
      - .offset:         68
        .size:           4
        .value_kind:     by_value
      - .offset:         72
        .size:           4
        .value_kind:     by_value
      - .offset:         76
        .size:           4
        .value_kind:     by_value
      - .offset:         80
        .size:           4
        .value_kind:     by_value
      - .offset:         84
        .size:           4
        .value_kind:     by_value
      - .offset:         88
        .size:           1
        .value_kind:     by_value
      - .offset:         92
        .size:           4
        .value_kind:     by_value
      - .offset:         96
        .size:           4
        .value_kind:     hidden_block_count_x
      - .offset:         100
        .size:           4
        .value_kind:     hidden_block_count_y
      - .offset:         104
        .size:           4
        .value_kind:     hidden_block_count_z
      - .offset:         108
        .size:           2
        .value_kind:     hidden_group_size_x
      - .offset:         110
        .size:           2
        .value_kind:     hidden_group_size_y
      - .offset:         112
        .size:           2
        .value_kind:     hidden_group_size_z
      - .offset:         114
        .size:           2
        .value_kind:     hidden_remainder_x
      - .offset:         116
        .size:           2
        .value_kind:     hidden_remainder_y
      - .offset:         118
        .size:           2
        .value_kind:     hidden_remainder_z
      - .offset:         136
        .size:           8
        .value_kind:     hidden_global_offset_x
      - .offset:         144
        .size:           8
        .value_kind:     hidden_global_offset_y
      - .offset:         152
        .size:           8
        .value_kind:     hidden_global_offset_z
      - .offset:         160
        .size:           2
        .value_kind:     hidden_grid_dims
    .group_segment_fixed_size: 0
    .kernarg_segment_align: 8
    .kernarg_segment_size: 352
    .language:       OpenCL C
    .language_version:
      - 2
      - 0
    .max_flat_workgroup_size: 1024
    .name:           naive_conv_nonpacked_wrw_nchw_half_half_half
    .private_segment_fixed_size: 0
    .sgpr_count:     84
    .sgpr_spill_count: 0
    .symbol:         naive_conv_nonpacked_wrw_nchw_half_half_half.kd
    .uniform_work_group_size: 1
    .uses_dynamic_stack: false
    .vgpr_count:     31
    .vgpr_spill_count: 0
    .wavefront_size: 64
amdhsa.target:   amdgcn-amd-amdhsa--gfx906
amdhsa.version:
  - 1
  - 2
...

	.end_amdgpu_metadata
